;; amdgpu-corpus repo=ROCm/rocFFT kind=compiled arch=gfx1030 opt=O3
	.text
	.amdgcn_target "amdgcn-amd-amdhsa--gfx1030"
	.amdhsa_code_object_version 6
	.protected	fft_rtc_fwd_len1092_factors_2_2_13_7_3_wgs_52_tpt_52_halfLds_sp_op_CI_CI_unitstride_sbrr_dirReg ; -- Begin function fft_rtc_fwd_len1092_factors_2_2_13_7_3_wgs_52_tpt_52_halfLds_sp_op_CI_CI_unitstride_sbrr_dirReg
	.globl	fft_rtc_fwd_len1092_factors_2_2_13_7_3_wgs_52_tpt_52_halfLds_sp_op_CI_CI_unitstride_sbrr_dirReg
	.p2align	8
	.type	fft_rtc_fwd_len1092_factors_2_2_13_7_3_wgs_52_tpt_52_halfLds_sp_op_CI_CI_unitstride_sbrr_dirReg,@function
fft_rtc_fwd_len1092_factors_2_2_13_7_3_wgs_52_tpt_52_halfLds_sp_op_CI_CI_unitstride_sbrr_dirReg: ; @fft_rtc_fwd_len1092_factors_2_2_13_7_3_wgs_52_tpt_52_halfLds_sp_op_CI_CI_unitstride_sbrr_dirReg
; %bb.0:
	s_clause 0x2
	s_load_dwordx4 s[12:15], s[4:5], 0x0
	s_load_dwordx4 s[8:11], s[4:5], 0x58
	;; [unrolled: 1-line block ×3, first 2 shown]
	v_mul_u32_u24_e32 v1, 0x4ed, v0
	v_mov_b32_e32 v3, 0
	v_add_nc_u32_sdwa v5, s6, v1 dst_sel:DWORD dst_unused:UNUSED_PAD src0_sel:DWORD src1_sel:WORD_1
	v_mov_b32_e32 v1, 0
	v_mov_b32_e32 v6, v3
	v_mov_b32_e32 v2, 0
	s_waitcnt lgkmcnt(0)
	v_cmp_lt_u64_e64 s0, s[14:15], 2
	s_and_b32 vcc_lo, exec_lo, s0
	s_cbranch_vccnz .LBB0_8
; %bb.1:
	s_load_dwordx2 s[0:1], s[4:5], 0x10
	v_mov_b32_e32 v1, 0
	v_mov_b32_e32 v2, 0
	s_add_u32 s2, s18, 8
	s_addc_u32 s3, s19, 0
	s_add_u32 s6, s16, 8
	s_addc_u32 s7, s17, 0
	v_mov_b32_e32 v25, v2
	v_mov_b32_e32 v24, v1
	s_mov_b64 s[22:23], 1
	s_waitcnt lgkmcnt(0)
	s_add_u32 s20, s0, 8
	s_addc_u32 s21, s1, 0
.LBB0_2:                                ; =>This Inner Loop Header: Depth=1
	s_load_dwordx2 s[24:25], s[20:21], 0x0
                                        ; implicit-def: $vgpr26_vgpr27
	s_mov_b32 s0, exec_lo
	s_waitcnt lgkmcnt(0)
	v_or_b32_e32 v4, s25, v6
	v_cmpx_ne_u64_e32 0, v[3:4]
	s_xor_b32 s1, exec_lo, s0
	s_cbranch_execz .LBB0_4
; %bb.3:                                ;   in Loop: Header=BB0_2 Depth=1
	v_cvt_f32_u32_e32 v4, s24
	v_cvt_f32_u32_e32 v7, s25
	s_sub_u32 s0, 0, s24
	s_subb_u32 s26, 0, s25
	v_fmac_f32_e32 v4, 0x4f800000, v7
	v_rcp_f32_e32 v4, v4
	v_mul_f32_e32 v4, 0x5f7ffffc, v4
	v_mul_f32_e32 v7, 0x2f800000, v4
	v_trunc_f32_e32 v7, v7
	v_fmac_f32_e32 v4, 0xcf800000, v7
	v_cvt_u32_f32_e32 v7, v7
	v_cvt_u32_f32_e32 v4, v4
	v_mul_lo_u32 v8, s0, v7
	v_mul_hi_u32 v9, s0, v4
	v_mul_lo_u32 v10, s26, v4
	v_add_nc_u32_e32 v8, v9, v8
	v_mul_lo_u32 v9, s0, v4
	v_add_nc_u32_e32 v8, v8, v10
	v_mul_hi_u32 v10, v4, v9
	v_mul_lo_u32 v11, v4, v8
	v_mul_hi_u32 v12, v4, v8
	v_mul_hi_u32 v13, v7, v9
	v_mul_lo_u32 v9, v7, v9
	v_mul_hi_u32 v14, v7, v8
	v_mul_lo_u32 v8, v7, v8
	v_add_co_u32 v10, vcc_lo, v10, v11
	v_add_co_ci_u32_e32 v11, vcc_lo, 0, v12, vcc_lo
	v_add_co_u32 v9, vcc_lo, v10, v9
	v_add_co_ci_u32_e32 v9, vcc_lo, v11, v13, vcc_lo
	v_add_co_ci_u32_e32 v10, vcc_lo, 0, v14, vcc_lo
	v_add_co_u32 v8, vcc_lo, v9, v8
	v_add_co_ci_u32_e32 v9, vcc_lo, 0, v10, vcc_lo
	v_add_co_u32 v4, vcc_lo, v4, v8
	v_add_co_ci_u32_e32 v7, vcc_lo, v7, v9, vcc_lo
	v_mul_hi_u32 v8, s0, v4
	v_mul_lo_u32 v10, s26, v4
	v_mul_lo_u32 v9, s0, v7
	v_add_nc_u32_e32 v8, v8, v9
	v_mul_lo_u32 v9, s0, v4
	v_add_nc_u32_e32 v8, v8, v10
	v_mul_hi_u32 v10, v4, v9
	v_mul_lo_u32 v11, v4, v8
	v_mul_hi_u32 v12, v4, v8
	v_mul_hi_u32 v13, v7, v9
	v_mul_lo_u32 v9, v7, v9
	v_mul_hi_u32 v14, v7, v8
	v_mul_lo_u32 v8, v7, v8
	v_add_co_u32 v10, vcc_lo, v10, v11
	v_add_co_ci_u32_e32 v11, vcc_lo, 0, v12, vcc_lo
	v_add_co_u32 v9, vcc_lo, v10, v9
	v_add_co_ci_u32_e32 v9, vcc_lo, v11, v13, vcc_lo
	v_add_co_ci_u32_e32 v10, vcc_lo, 0, v14, vcc_lo
	v_add_co_u32 v8, vcc_lo, v9, v8
	v_add_co_ci_u32_e32 v9, vcc_lo, 0, v10, vcc_lo
	v_add_co_u32 v4, vcc_lo, v4, v8
	v_add_co_ci_u32_e32 v11, vcc_lo, v7, v9, vcc_lo
	v_mul_hi_u32 v13, v5, v4
	v_mad_u64_u32 v[9:10], null, v6, v4, 0
	v_mad_u64_u32 v[7:8], null, v5, v11, 0
	;; [unrolled: 1-line block ×3, first 2 shown]
	v_add_co_u32 v4, vcc_lo, v13, v7
	v_add_co_ci_u32_e32 v7, vcc_lo, 0, v8, vcc_lo
	v_add_co_u32 v4, vcc_lo, v4, v9
	v_add_co_ci_u32_e32 v4, vcc_lo, v7, v10, vcc_lo
	v_add_co_ci_u32_e32 v7, vcc_lo, 0, v12, vcc_lo
	v_add_co_u32 v4, vcc_lo, v4, v11
	v_add_co_ci_u32_e32 v9, vcc_lo, 0, v7, vcc_lo
	v_mul_lo_u32 v10, s25, v4
	v_mad_u64_u32 v[7:8], null, s24, v4, 0
	v_mul_lo_u32 v11, s24, v9
	v_sub_co_u32 v7, vcc_lo, v5, v7
	v_add3_u32 v8, v8, v11, v10
	v_sub_nc_u32_e32 v10, v6, v8
	v_subrev_co_ci_u32_e64 v10, s0, s25, v10, vcc_lo
	v_add_co_u32 v11, s0, v4, 2
	v_add_co_ci_u32_e64 v12, s0, 0, v9, s0
	v_sub_co_u32 v13, s0, v7, s24
	v_sub_co_ci_u32_e32 v8, vcc_lo, v6, v8, vcc_lo
	v_subrev_co_ci_u32_e64 v10, s0, 0, v10, s0
	v_cmp_le_u32_e32 vcc_lo, s24, v13
	v_cmp_eq_u32_e64 s0, s25, v8
	v_cndmask_b32_e64 v13, 0, -1, vcc_lo
	v_cmp_le_u32_e32 vcc_lo, s25, v10
	v_cndmask_b32_e64 v14, 0, -1, vcc_lo
	v_cmp_le_u32_e32 vcc_lo, s24, v7
	;; [unrolled: 2-line block ×3, first 2 shown]
	v_cndmask_b32_e64 v15, 0, -1, vcc_lo
	v_cmp_eq_u32_e32 vcc_lo, s25, v10
	v_cndmask_b32_e64 v7, v15, v7, s0
	v_cndmask_b32_e32 v10, v14, v13, vcc_lo
	v_add_co_u32 v13, vcc_lo, v4, 1
	v_add_co_ci_u32_e32 v14, vcc_lo, 0, v9, vcc_lo
	v_cmp_ne_u32_e32 vcc_lo, 0, v10
	v_cndmask_b32_e32 v8, v14, v12, vcc_lo
	v_cndmask_b32_e32 v10, v13, v11, vcc_lo
	v_cmp_ne_u32_e32 vcc_lo, 0, v7
	v_cndmask_b32_e32 v27, v9, v8, vcc_lo
	v_cndmask_b32_e32 v26, v4, v10, vcc_lo
.LBB0_4:                                ;   in Loop: Header=BB0_2 Depth=1
	s_andn2_saveexec_b32 s0, s1
	s_cbranch_execz .LBB0_6
; %bb.5:                                ;   in Loop: Header=BB0_2 Depth=1
	v_cvt_f32_u32_e32 v4, s24
	s_sub_i32 s1, 0, s24
	v_mov_b32_e32 v27, v3
	v_rcp_iflag_f32_e32 v4, v4
	v_mul_f32_e32 v4, 0x4f7ffffe, v4
	v_cvt_u32_f32_e32 v4, v4
	v_mul_lo_u32 v7, s1, v4
	v_mul_hi_u32 v7, v4, v7
	v_add_nc_u32_e32 v4, v4, v7
	v_mul_hi_u32 v4, v5, v4
	v_mul_lo_u32 v7, v4, s24
	v_add_nc_u32_e32 v8, 1, v4
	v_sub_nc_u32_e32 v7, v5, v7
	v_subrev_nc_u32_e32 v9, s24, v7
	v_cmp_le_u32_e32 vcc_lo, s24, v7
	v_cndmask_b32_e32 v7, v7, v9, vcc_lo
	v_cndmask_b32_e32 v4, v4, v8, vcc_lo
	v_cmp_le_u32_e32 vcc_lo, s24, v7
	v_add_nc_u32_e32 v8, 1, v4
	v_cndmask_b32_e32 v26, v4, v8, vcc_lo
.LBB0_6:                                ;   in Loop: Header=BB0_2 Depth=1
	s_or_b32 exec_lo, exec_lo, s0
	v_mul_lo_u32 v4, v27, s24
	v_mul_lo_u32 v9, v26, s25
	s_load_dwordx2 s[0:1], s[6:7], 0x0
	v_mad_u64_u32 v[7:8], null, v26, s24, 0
	s_load_dwordx2 s[24:25], s[2:3], 0x0
	s_add_u32 s22, s22, 1
	s_addc_u32 s23, s23, 0
	s_add_u32 s2, s2, 8
	s_addc_u32 s3, s3, 0
	s_add_u32 s6, s6, 8
	v_add3_u32 v4, v8, v9, v4
	v_sub_co_u32 v5, vcc_lo, v5, v7
	s_addc_u32 s7, s7, 0
	s_add_u32 s20, s20, 8
	v_sub_co_ci_u32_e32 v4, vcc_lo, v6, v4, vcc_lo
	s_addc_u32 s21, s21, 0
	s_waitcnt lgkmcnt(0)
	v_mul_lo_u32 v6, s0, v4
	v_mul_lo_u32 v7, s1, v5
	v_mad_u64_u32 v[1:2], null, s0, v5, v[1:2]
	v_mul_lo_u32 v4, s24, v4
	v_mul_lo_u32 v8, s25, v5
	v_mad_u64_u32 v[24:25], null, s24, v5, v[24:25]
	v_cmp_ge_u64_e64 s0, s[22:23], s[14:15]
	v_add3_u32 v2, v7, v2, v6
	v_add3_u32 v25, v8, v25, v4
	s_and_b32 vcc_lo, exec_lo, s0
	s_cbranch_vccnz .LBB0_9
; %bb.7:                                ;   in Loop: Header=BB0_2 Depth=1
	v_mov_b32_e32 v5, v26
	v_mov_b32_e32 v6, v27
	s_branch .LBB0_2
.LBB0_8:
	v_mov_b32_e32 v25, v2
	v_mov_b32_e32 v27, v6
	;; [unrolled: 1-line block ×4, first 2 shown]
.LBB0_9:
	s_load_dwordx2 s[0:1], s[4:5], 0x28
	v_mul_hi_u32 v3, 0x4ec4ec5, v0
	s_lshl_b64 s[4:5], s[14:15], 3
                                        ; implicit-def: $sgpr6
                                        ; implicit-def: $vgpr86
	s_add_u32 s2, s18, s4
	s_addc_u32 s3, s19, s5
	s_waitcnt lgkmcnt(0)
	v_cmp_gt_u64_e32 vcc_lo, s[0:1], v[26:27]
	v_cmp_le_u64_e64 s0, s[0:1], v[26:27]
	s_and_saveexec_b32 s1, s0
	s_xor_b32 s0, exec_lo, s1
; %bb.10:
	v_mul_u32_u24_e32 v1, 52, v3
	s_mov_b32 s6, 0
                                        ; implicit-def: $vgpr3
	v_sub_nc_u32_e32 v86, v0, v1
                                        ; implicit-def: $vgpr0
                                        ; implicit-def: $vgpr1_vgpr2
; %bb.11:
	s_or_saveexec_b32 s1, s0
	s_load_dwordx2 s[2:3], s[2:3], 0x0
	v_mov_b32_e32 v6, s6
	v_mov_b32_e32 v5, s6
                                        ; implicit-def: $vgpr14
                                        ; implicit-def: $vgpr41
                                        ; implicit-def: $vgpr16
                                        ; implicit-def: $vgpr35
                                        ; implicit-def: $vgpr18
                                        ; implicit-def: $vgpr37
                                        ; implicit-def: $vgpr20
                                        ; implicit-def: $vgpr43
                                        ; implicit-def: $vgpr22
                                        ; implicit-def: $vgpr45
                                        ; implicit-def: $vgpr33
                                        ; implicit-def: $vgpr51
                                        ; implicit-def: $vgpr29
                                        ; implicit-def: $vgpr49
                                        ; implicit-def: $vgpr31
                                        ; implicit-def: $vgpr53
                                        ; implicit-def: $vgpr39
                                        ; implicit-def: $vgpr55
                                        ; implicit-def: $vgpr47
                                        ; implicit-def: $vgpr57
                                        ; implicit-def: $vgpr62
	s_xor_b32 exec_lo, exec_lo, s1
	s_cbranch_execz .LBB0_15
; %bb.12:
	s_add_u32 s4, s16, s4
	s_addc_u32 s5, s17, s5
	v_lshlrev_b64 v[1:2], 3, v[1:2]
	s_load_dwordx2 s[4:5], s[4:5], 0x0
                                        ; implicit-def: $vgpr61
	s_waitcnt lgkmcnt(0)
	v_mul_lo_u32 v6, s5, v26
	v_mul_lo_u32 v7, s4, v27
	v_mad_u64_u32 v[4:5], null, s4, v26, 0
	s_mov_b32 s4, exec_lo
	v_add3_u32 v5, v5, v7, v6
	v_mul_u32_u24_e32 v6, 52, v3
	v_lshlrev_b64 v[3:4], 3, v[4:5]
	v_sub_nc_u32_e32 v86, v0, v6
	v_add_co_u32 v0, s0, s8, v3
	v_add_co_ci_u32_e64 v3, s0, s9, v4, s0
	v_lshlrev_b32_e32 v4, 3, v86
	v_add_co_u32 v0, s0, v0, v1
	v_add_co_ci_u32_e64 v1, s0, v3, v2, s0
	v_add_co_u32 v0, s0, v0, v4
	v_add_co_ci_u32_e64 v1, s0, 0, v1, s0
	s_clause 0x3
	global_load_dwordx2 v[13:14], v[0:1], off
	global_load_dwordx2 v[15:16], v[0:1], off offset:416
	global_load_dwordx2 v[17:18], v[0:1], off offset:832
	;; [unrolled: 1-line block ×3, first 2 shown]
	v_add_co_u32 v2, s0, 0x1000, v0
	v_add_co_ci_u32_e64 v3, s0, 0, v1, s0
	v_add_co_u32 v4, s0, 0x800, v0
	v_add_co_ci_u32_e64 v5, s0, 0, v1, s0
	;; [unrolled: 2-line block ×3, first 2 shown]
	s_clause 0xf
	global_load_dwordx2 v[34:35], v[2:3], off offset:688
	global_load_dwordx2 v[36:37], v[2:3], off offset:1104
	;; [unrolled: 1-line block ×16, first 2 shown]
	v_mov_b32_e32 v5, 0
	v_mov_b32_e32 v6, 0
	v_cmpx_gt_u32_e32 26, v86
; %bb.13:
	v_add_co_u32 v0, s0, 0x2000, v0
	v_add_co_ci_u32_e64 v1, s0, 0, v1, s0
	s_clause 0x1
	global_load_dwordx2 v[5:6], v[2:3], off offset:64
	global_load_dwordx2 v[61:62], v[0:1], off offset:336
; %bb.14:
	s_or_b32 exec_lo, exec_lo, s4
.LBB0_15:
	s_or_b32 exec_lo, exec_lo, s1
	s_waitcnt vmcnt(13)
	v_sub_f32_e32 v1, v13, v40
	v_sub_f32_e32 v3, v15, v34
	;; [unrolled: 1-line block ×3, first 2 shown]
	v_add_nc_u32_e32 v88, 52, v86
	v_lshl_add_u32 v23, v86, 3, 0
	v_fma_f32 v0, v13, 2.0, -v1
	v_fma_f32 v2, v15, 2.0, -v3
	v_add_nc_u32_e32 v36, 0x68, v86
	v_fma_f32 v7, v17, 2.0, -v8
	v_lshl_add_u32 v17, v88, 3, 0
	s_waitcnt vmcnt(11)
	v_sub_f32_e32 v10, v19, v42
	v_add_nc_u32_e32 v34, 0x9c, v86
	ds_write_b64 v23, v[0:1]
	s_waitcnt vmcnt(10)
	v_sub_f32_e32 v1, v21, v44
	v_add_nc_u32_e32 v44, 0xd0, v86
	v_lshl_add_u32 v15, v36, 3, 0
	ds_write_b64 v17, v[2:3]
	s_waitcnt vmcnt(5)
	v_sub_f32_e32 v3, v32, v50
	v_add_nc_u32_e32 v50, 0x104, v86
	v_fma_f32 v9, v19, 2.0, -v10
	v_lshl_add_u32 v42, v34, 3, 0
	v_fma_f32 v0, v21, 2.0, -v1
	v_lshl_add_u32 v21, v44, 3, 0
	;; [unrolled: 2-line block ×3, first 2 shown]
	ds_write_b64 v15, v[7:8]
	ds_write_b64 v42, v[9:10]
	ds_write_b64 v21, v[0:1]
	s_waitcnt vmcnt(3)
	v_sub_f32_e32 v4, v28, v48
	v_add_nc_u32_e32 v48, 0x138, v86
	s_waitcnt vmcnt(2)
	v_sub_f32_e32 v8, v30, v52
	v_add_nc_u32_e32 v52, 0x16c, v86
	;; [unrolled: 3-line block ×4, first 2 shown]
	v_sub_f32_e32 v1, v5, v61
	v_add_nc_u32_e32 v40, 0x208, v86
	ds_write_b64 v19, v[2:3]
	v_fma_f32 v3, v28, 2.0, -v4
	v_lshl_add_u32 v32, v48, 3, 0
	v_fma_f32 v7, v30, 2.0, -v8
	v_lshl_add_u32 v28, v52, 3, 0
	;; [unrolled: 2-line block ×4, first 2 shown]
	v_fma_f32 v0, v5, 2.0, -v1
	v_cmp_gt_u32_e64 s1, 26, v86
	v_lshl_add_u32 v30, v40, 3, 0
	ds_write_b64 v32, v[3:4]
	ds_write_b64 v28, v[7:8]
	;; [unrolled: 1-line block ×4, first 2 shown]
	s_and_saveexec_b32 s0, s1
	s_cbranch_execz .LBB0_17
; %bb.16:
	ds_write_b64 v30, v[0:1]
.LBB0_17:
	s_or_b32 exec_lo, exec_lo, s0
	v_lshl_add_u32 v87, v86, 2, 0
	s_waitcnt lgkmcnt(0)
	s_barrier
	buffer_gl0_inv
	v_add_nc_u32_e32 v2, 0x800, v87
	v_add_nc_u32_e32 v3, 0x200, v87
	;; [unrolled: 1-line block ×5, first 2 shown]
	ds_read2_b32 v[58:59], v87 offset1:52
	ds_read2_b32 v[60:61], v87 offset0:104 offset1:156
	ds_read2_b32 v[12:13], v2 offset0:34 offset1:86
	;; [unrolled: 1-line block ×9, first 2 shown]
	s_and_saveexec_b32 s0, s1
	s_cbranch_execz .LBB0_19
; %bb.18:
	ds_read_b32 v0, v87 offset:2080
	ds_read_b32 v1, v87 offset:4264
.LBB0_19:
	s_or_b32 exec_lo, exec_lo, s0
	v_sub_f32_e32 v66, v14, v41
	v_sub_f32_e32 v7, v6, v62
	;; [unrolled: 1-line block ×6, first 2 shown]
	v_fma_f32 v65, v14, 2.0, -v66
	v_sub_f32_e32 v81, v33, v51
	v_sub_f32_e32 v83, v29, v49
	;; [unrolled: 1-line block ×5, first 2 shown]
	v_fma_f32 v6, v6, 2.0, -v7
	v_fma_f32 v67, v16, 2.0, -v68
	;; [unrolled: 1-line block ×10, first 2 shown]
	s_waitcnt lgkmcnt(0)
	s_barrier
	buffer_gl0_inv
	ds_write_b64 v23, v[65:66]
	ds_write_b64 v17, v[67:68]
	ds_write_b64 v15, v[69:70]
	ds_write_b64 v42, v[74:75]
	ds_write_b64 v21, v[78:79]
	ds_write_b64 v19, v[80:81]
	ds_write_b64 v32, v[82:83]
	ds_write_b64 v28, v[84:85]
	ds_write_b64 v38, v[89:90]
	ds_write_b64 v46, v[91:92]
	s_and_saveexec_b32 s0, s1
	s_cbranch_execz .LBB0_21
; %bb.20:
	ds_write_b64 v30, v[6:7]
.LBB0_21:
	s_or_b32 exec_lo, exec_lo, s0
	v_add_nc_u32_e32 v14, 0x800, v87
	v_add_nc_u32_e32 v15, 0x200, v87
	v_add_nc_u32_e32 v16, 0xa00, v87
	v_add_nc_u32_e32 v17, 0x400, v87
	v_add_nc_u32_e32 v28, 0xc00, v87
	s_waitcnt lgkmcnt(0)
	s_barrier
	buffer_gl0_inv
	ds_read2_b32 v[18:19], v87 offset1:52
	ds_read2_b32 v[70:71], v14 offset0:34 offset1:86
	ds_read2_b32 v[20:21], v87 offset0:104 offset1:156
	;; [unrolled: 1-line block ×9, first 2 shown]
	v_lshlrev_b32_e32 v30, 1, v86
	v_lshlrev_b32_e32 v32, 1, v88
	;; [unrolled: 1-line block ×10, first 2 shown]
	s_and_saveexec_b32 s0, s1
	s_cbranch_execz .LBB0_23
; %bb.22:
	ds_read_b32 v6, v87 offset:2080
	ds_read_b32 v7, v87 offset:4264
.LBB0_23:
	s_or_b32 exec_lo, exec_lo, s0
	v_and_b32_e32 v29, 1, v86
	v_lshlrev_b32_e32 v31, 3, v29
	v_and_or_b32 v46, 0xfc, v32, v29
	v_and_or_b32 v48, 0x1fc, v34, v29
	;; [unrolled: 1-line block ×4, first 2 shown]
	global_load_dwordx2 v[74:75], v31, s[12:13]
	v_lshlrev_b32_e32 v31, 1, v40
	v_and_or_b32 v40, 0x7c, v30, v29
	v_and_or_b32 v51, 0x2fc, v28, v29
	;; [unrolled: 1-line block ×6, first 2 shown]
	v_lshl_add_u32 v78, v40, 2, 0
	v_lshl_add_u32 v79, v46, 2, 0
	;; [unrolled: 1-line block ×10, first 2 shown]
	s_waitcnt vmcnt(0) lgkmcnt(0)
	s_barrier
	buffer_gl0_inv
	v_mul_f32_e32 v40, v70, v75
	v_mul_f32_e32 v46, v68, v75
	;; [unrolled: 1-line block ×11, first 2 shown]
	v_fma_f32 v40, v12, v74, -v40
	v_fma_f32 v53, v8, v74, -v46
	;; [unrolled: 1-line block ×11, first 2 shown]
	v_sub_f32_e32 v54, v58, v40
	v_sub_f32_e32 v46, v77, v46
	;; [unrolled: 1-line block ×11, first 2 shown]
	v_fma_f32 v51, v77, 2.0, -v46
	v_fma_f32 v53, v76, 2.0, -v50
	;; [unrolled: 1-line block ×11, first 2 shown]
	ds_write2_b32 v78, v49, v54 offset1:2
	ds_write2_b32 v79, v58, v55 offset1:2
	;; [unrolled: 1-line block ×10, first 2 shown]
	s_and_saveexec_b32 s0, s1
	s_cbranch_execz .LBB0_25
; %bb.24:
	v_and_or_b32 v0, 0x47c, v31, v29
	v_lshl_add_u32 v0, v0, 2, 0
	ds_write2_b32 v0, v47, v48 offset1:2
.LBB0_25:
	s_or_b32 exec_lo, exec_lo, s0
	v_add_nc_u32_e32 v0, 0x400, v87
	v_add_nc_u32_e32 v54, 0x600, v87
	;; [unrolled: 1-line block ×4, first 2 shown]
	s_waitcnt lgkmcnt(0)
	s_barrier
	buffer_gl0_inv
	ds_read2_b32 v[44:45], v87 offset1:84
	ds_read2_b32 v[62:63], v87 offset0:168 offset1:252
	ds_read2_b32 v[60:61], v0 offset0:80 offset1:164
	ds_read2_b32 v[58:59], v54 offset0:120 offset1:204
	ds_read2_b32 v[56:57], v49 offset0:160 offset1:244
	ds_read2_b32 v[54:55], v64 offset0:72 offset1:156
	ds_read_b32 v97, v87 offset:4032
	v_cmp_gt_u32_e64 s0, 32, v86
                                        ; implicit-def: $vgpr99
                                        ; implicit-def: $vgpr65
	s_and_saveexec_b32 s4, s0
	s_cbranch_execz .LBB0_27
; %bb.26:
	v_add_nc_u32_e32 v48, 0x200, v87
	v_add_nc_u32_e32 v65, 0xa00, v87
	ds_read2_b32 v[40:41], v87 offset0:52 offset1:136
	ds_read2_b32 v[50:51], v0 offset0:132 offset1:216
	;; [unrolled: 1-line block ×6, first 2 shown]
	ds_read_b32 v99, v87 offset:4240
.LBB0_27:
	s_or_b32 exec_lo, exec_lo, s4
	v_mul_f32_e32 v0, v12, v75
	v_mul_f32_e32 v5, v5, v75
	v_mul_f32_e32 v2, v2, v75
	v_mul_f32_e32 v3, v3, v75
	v_mul_f32_e32 v1, v1, v75
	v_mul_f32_e32 v12, v13, v75
	v_mul_f32_e32 v10, v10, v75
	v_mul_f32_e32 v11, v11, v75
	v_mul_f32_e32 v8, v8, v75
	v_fmac_f32_e32 v0, v70, v74
	v_mul_f32_e32 v9, v9, v75
	v_mul_f32_e32 v4, v4, v75
	v_fmac_f32_e32 v5, v39, v74
	v_fmac_f32_e32 v2, v42, v74
	;; [unrolled: 1-line block ×10, first 2 shown]
	v_sub_f32_e32 v0, v18, v0
	v_sub_f32_e32 v72, v15, v5
	v_sub_f32_e32 v70, v16, v2
	v_sub_f32_e32 v66, v17, v3
	v_sub_f32_e32 v68, v6, v1
	v_sub_f32_e32 v12, v19, v12
	v_sub_f32_e32 v10, v20, v10
	v_sub_f32_e32 v11, v21, v11
	v_sub_f32_e32 v8, v22, v8
	v_fma_f32 v7, v18, 2.0, -v0
	v_sub_f32_e32 v9, v23, v9
	v_sub_f32_e32 v38, v14, v4
	v_fma_f32 v39, v15, 2.0, -v72
	v_fma_f32 v73, v16, 2.0, -v70
	;; [unrolled: 1-line block ×10, first 2 shown]
	s_waitcnt lgkmcnt(0)
	s_barrier
	buffer_gl0_inv
	ds_write2_b32 v78, v7, v0 offset1:2
	ds_write2_b32 v79, v13, v12 offset1:2
	;; [unrolled: 1-line block ×10, first 2 shown]
	s_and_saveexec_b32 s4, s1
	s_cbranch_execz .LBB0_29
; %bb.28:
	v_and_or_b32 v0, 0x47c, v31, v29
	v_lshl_add_u32 v0, v0, 2, 0
	ds_write2_b32 v0, v67, v68 offset1:2
.LBB0_29:
	s_or_b32 exec_lo, exec_lo, s4
	v_add_nc_u32_e32 v0, 0x400, v87
	v_add_nc_u32_e32 v3, 0x600, v87
	;; [unrolled: 1-line block ×4, first 2 shown]
	s_waitcnt lgkmcnt(0)
	s_barrier
	buffer_gl0_inv
	ds_read2_b32 v[42:43], v87 offset1:84
	ds_read2_b32 v[82:83], v87 offset0:168 offset1:252
	ds_read2_b32 v[80:81], v0 offset0:80 offset1:164
	;; [unrolled: 1-line block ×5, first 2 shown]
	ds_read_b32 v102, v87 offset:4032
                                        ; implicit-def: $vgpr103
                                        ; implicit-def: $vgpr85
	s_and_saveexec_b32 s1, s0
	s_cbranch_execz .LBB0_31
; %bb.30:
	v_add_nc_u32_e32 v3, 0x200, v87
	v_add_nc_u32_e32 v4, 0xa00, v87
	ds_read2_b32 v[38:39], v87 offset0:52 offset1:136
	ds_read2_b32 v[70:71], v0 offset0:132 offset1:216
	;; [unrolled: 1-line block ×6, first 2 shown]
	ds_read_b32 v103, v87 offset:4240
.LBB0_31:
	s_or_b32 exec_lo, exec_lo, s1
	v_and_b32_e32 v29, 3, v86
	v_lshrrev_b32_e32 v31, 2, v86
	v_mul_u32_u24_e32 v0, 12, v29
	v_mul_u32_u24_e32 v31, 52, v31
	v_lshlrev_b32_e32 v16, 3, v0
	v_or_b32_e32 v89, v31, v29
	v_lshrrev_b32_e32 v31, 2, v88
	s_clause 0x5
	global_load_dwordx4 v[12:15], v16, s[12:13] offset:16
	global_load_dwordx4 v[8:11], v16, s[12:13] offset:32
	;; [unrolled: 1-line block ×6, first 2 shown]
	v_lshl_add_u32 v98, v89, 2, 0
	s_waitcnt vmcnt(0) lgkmcnt(0)
	s_barrier
	buffer_gl0_inv
	v_mul_f32_e32 v112, v43, v13
	v_mul_f32_e32 v111, v45, v13
	;; [unrolled: 1-line block ×9, first 2 shown]
	v_fma_f32 v112, v45, v12, -v112
	v_mul_f32_e32 v123, v77, v21
	v_mul_f32_e32 v105, v57, v21
	;; [unrolled: 1-line block ×9, first 2 shown]
	v_fmac_f32_e32 v111, v43, v12
	v_fma_f32 v21, v62, v14, -v113
	v_fma_f32 v23, v55, v16, -v125
	v_fmac_f32_e32 v109, v75, v16
	v_fma_f32 v43, v51, v4, -v127
	v_fma_f32 v51, v65, v16, -v133
	v_fmac_f32_e32 v94, v85, v16
	v_add_f32_e32 v16, v44, v112
	v_mul_f32_e32 v108, v97, v19
	v_mul_f32_e32 v110, v62, v15
	;; [unrolled: 1-line block ×5, first 2 shown]
	v_fma_f32 v17, v63, v8, -v114
	v_add_f32_e32 v16, v16, v21
	v_mul_f32_e32 v106, v63, v9
	v_mul_f32_e32 v104, v60, v11
	;; [unrolled: 1-line block ×23, first 2 shown]
	v_fmac_f32_e32 v108, v102, v18
	v_fmac_f32_e32 v110, v82, v14
	v_fma_f32 v82, v41, v12, -v117
	v_fmac_f32_e32 v96, v39, v12
	v_fma_f32 v12, v60, v10, -v115
	v_add_f32_e32 v16, v16, v17
	v_mul_f32_e32 v134, v103, v19
	v_mul_f32_e32 v93, v99, v19
	v_fma_f32 v62, v52, v14, -v118
	v_fmac_f32_e32 v95, v72, v14
	v_fmac_f32_e32 v106, v83, v8
	;; [unrolled: 1-line block ×3, first 2 shown]
	v_fma_f32 v45, v50, v10, -v9
	v_fmac_f32_e32 v89, v70, v10
	v_fma_f32 v10, v61, v4, -v116
	v_fmac_f32_e32 v100, v81, v4
	;; [unrolled: 2-line block ×3, first 2 shown]
	v_fmac_f32_e32 v15, v79, v0
	v_fma_f32 v11, v56, v2, -v122
	v_fma_f32 v14, v57, v20, -v123
	v_fmac_f32_e32 v101, v76, v2
	v_fmac_f32_e32 v105, v77, v20
	;; [unrolled: 1-line block ×3, first 2 shown]
	v_fma_f32 v39, v97, v18, -v126
	v_fmac_f32_e32 v88, v71, v4
	v_fma_f32 v4, v47, v0, -v129
	v_fmac_f32_e32 v1, v67, v0
	;; [unrolled: 2-line block ×4, first 2 shown]
	v_sub_f32_e32 v20, v111, v108
	v_add_f32_e32 v16, v16, v12
	v_fma_f32 v52, v53, v8, -v121
	v_fmac_f32_e32 v91, v73, v8
	v_fma_f32 v8, v58, v6, -v119
	v_fma_f32 v19, v54, v22, -v124
	v_fma_f32 v54, v99, v18, -v134
	v_fmac_f32_e32 v93, v103, v18
	v_add_f32_e32 v18, v112, v39
	v_sub_f32_e32 v41, v110, v109
	v_sub_f32_e32 v47, v106, v107
	;; [unrolled: 1-line block ×5, first 2 shown]
	v_mul_f32_e32 v57, 0xbeedf032, v20
	v_mul_f32_e32 v58, 0xbf52af12, v20
	;; [unrolled: 1-line block ×6, first 2 shown]
	v_add_f32_e32 v16, v16, v10
	v_fma_f32 v3, v46, v6, -v128
	v_fmac_f32_e32 v5, v66, v6
	v_fma_f32 v6, v64, v22, -v132
	v_fmac_f32_e32 v92, v84, v22
	v_add_f32_e32 v22, v21, v23
	v_add_f32_e32 v46, v17, v19
	v_add_f32_e32 v49, v12, v14
	v_add_f32_e32 v53, v10, v11
	v_add_f32_e32 v56, v8, v9
	v_mul_f32_e32 v63, 0xbf52af12, v41
	v_mul_f32_e32 v64, 0xbf6f5d39, v41
	;; [unrolled: 1-line block ×30, first 2 shown]
	v_fma_f32 v103, 0x3f62ad3f, v18, -v57
	v_fmac_f32_e32 v57, 0x3f62ad3f, v18
	v_fma_f32 v113, 0x3f116cb1, v18, -v58
	v_fmac_f32_e32 v58, 0x3f116cb1, v18
	;; [unrolled: 2-line block ×4, first 2 shown]
	v_fma_f32 v116, 0xbf3f9e67, v18, -v61
	v_fma_f32 v117, 0xbf788fa5, v18, -v20
	v_fmac_f32_e32 v20, 0xbf788fa5, v18
	v_fmac_f32_e32 v61, 0xbf3f9e67, v18
	v_add_f32_e32 v16, v16, v8
	v_fma_f32 v18, 0x3f116cb1, v22, -v63
	v_fmac_f32_e32 v63, 0x3f116cb1, v22
	v_fma_f32 v118, 0xbeb58ec6, v22, -v64
	v_fmac_f32_e32 v64, 0xbeb58ec6, v22
	;; [unrolled: 2-line block ×30, first 2 shown]
	v_add_f32_e32 v56, v44, v103
	v_add_f32_e32 v57, v44, v57
	;; [unrolled: 1-line block ×78, first 2 shown]
	ds_write2_b32 v98, v41, v46 offset0:8 offset1:12
	ds_write2_b32 v98, v48, v50 offset0:16 offset1:20
	;; [unrolled: 1-line block ×5, first 2 shown]
	ds_write2_b32 v98, v16, v18 offset1:4
	ds_write_b32 v98, v22 offset:192
	s_and_saveexec_b32 s1, s0
	s_cbranch_execz .LBB0_33
; %bb.32:
	v_sub_f32_e32 v16, v96, v93
	v_add_f32_e32 v18, v82, v54
	v_sub_f32_e32 v22, v95, v94
	v_add_f32_e32 v20, v62, v51
	v_sub_f32_e32 v46, v91, v92
	v_mul_f32_e32 v44, 0xbe750f2a, v16
	v_add_f32_e32 v41, v52, v6
	v_mul_f32_e32 v49, 0x3eedf032, v22
	v_sub_f32_e32 v48, v89, v90
	v_mul_f32_e32 v56, 0xbf29c268, v46
	v_fmamk_f32 v50, v18, 0xbf788fa5, v44
	v_fma_f32 v44, 0xbf788fa5, v18, -v44
	v_fmamk_f32 v57, v20, 0x3f62ad3f, v49
	v_add_f32_e32 v47, v45, v2
	v_sub_f32_e32 v55, v88, v7
	v_add_f32_e32 v50, v40, v50
	v_mul_f32_e32 v60, 0x3f52af12, v48
	v_fmamk_f32 v61, v41, 0xbf3f9e67, v56
	v_fma_f32 v49, 0x3f62ad3f, v20, -v49
	v_add_f32_e32 v44, v40, v44
	v_add_f32_e32 v50, v57, v50
	;; [unrolled: 1-line block ×3, first 2 shown]
	v_mul_f32_e32 v57, 0xbf6f5d39, v55
	v_fmamk_f32 v63, v47, 0x3f116cb1, v60
	v_fma_f32 v56, 0xbf3f9e67, v41, -v56
	v_add_f32_e32 v50, v61, v50
	v_mul_f32_e32 v61, 0xbf29c268, v16
	v_add_f32_e32 v44, v49, v44
	v_fmamk_f32 v64, v53, 0xbeb58ec6, v57
	v_mul_f32_e32 v65, 0x3f7e222b, v22
	v_add_f32_e32 v50, v63, v50
	v_fmamk_f32 v63, v18, 0xbf3f9e67, v61
	v_add_f32_e32 v44, v56, v44
	v_fma_f32 v56, 0x3f116cb1, v47, -v60
	v_sub_f32_e32 v59, v5, v1
	v_add_f32_e32 v50, v64, v50
	v_add_f32_e32 v60, v40, v63
	v_fmamk_f32 v63, v20, 0x3df6dbef, v65
	v_mul_f32_e32 v64, 0xbf52af12, v46
	v_add_f32_e32 v44, v56, v44
	v_fma_f32 v56, 0xbeb58ec6, v53, -v57
	v_add_f32_e32 v58, v3, v4
	v_mul_f32_e32 v49, 0x3f7e222b, v59
	v_add_f32_e32 v57, v63, v60
	v_fmamk_f32 v60, v41, 0x3f116cb1, v64
	v_mul_f32_e32 v63, 0x3e750f2a, v48
	v_add_f32_e32 v44, v56, v44
	v_fma_f32 v56, 0xbf3f9e67, v18, -v61
	v_fmamk_f32 v66, v58, 0x3df6dbef, v49
	v_add_f32_e32 v57, v60, v57
	v_fmamk_f32 v60, v47, 0xbf788fa5, v63
	v_mul_f32_e32 v61, 0x3eedf032, v55
	v_fma_f32 v49, 0x3df6dbef, v58, -v49
	v_add_f32_e32 v56, v40, v56
	v_fma_f32 v65, 0x3df6dbef, v20, -v65
	v_add_f32_e32 v57, v60, v57
	v_fmamk_f32 v60, v53, 0x3f62ad3f, v61
	v_add_f32_e32 v44, v49, v44
	v_mul_f32_e32 v49, 0xbf6f5d39, v16
	v_add_f32_e32 v56, v65, v56
	v_fma_f32 v64, 0x3f116cb1, v41, -v64
	v_add_f32_e32 v50, v66, v50
	v_add_f32_e32 v57, v60, v57
	v_mul_f32_e32 v60, 0xbf6f5d39, v59
	v_fmamk_f32 v65, v18, 0xbeb58ec6, v49
	v_mul_f32_e32 v66, 0x3f29c268, v22
	v_add_f32_e32 v56, v64, v56
	v_fma_f32 v63, 0xbf788fa5, v47, -v63
	v_fmamk_f32 v64, v58, 0xbeb58ec6, v60
	v_add_f32_e32 v65, v40, v65
	v_fmamk_f32 v67, v20, 0xbf3f9e67, v66
	v_mul_f32_e32 v68, 0x3eedf032, v46
	v_add_f32_e32 v56, v63, v56
	v_fma_f32 v61, 0x3f62ad3f, v53, -v61
	v_add_f32_e32 v57, v64, v57
	v_add_f32_e32 v63, v67, v65
	v_fmamk_f32 v64, v41, 0x3f62ad3f, v68
	v_mul_f32_e32 v65, 0xbf7e222b, v48
	v_add_f32_e32 v56, v61, v56
	v_fma_f32 v60, 0xbeb58ec6, v58, -v60
	v_fma_f32 v49, 0xbeb58ec6, v18, -v49
	v_add_f32_e32 v61, v64, v63
	v_fmamk_f32 v63, v47, 0x3df6dbef, v65
	v_mul_f32_e32 v64, 0x3e750f2a, v55
	v_add_f32_e32 v56, v60, v56
	v_add_f32_e32 v49, v40, v49
	v_fma_f32 v60, 0xbf3f9e67, v20, -v66
	v_add_f32_e32 v61, v63, v61
	v_fmamk_f32 v63, v53, 0xbf788fa5, v64
	v_mul_f32_e32 v66, 0x3f52af12, v59
	v_mul_f32_e32 v67, 0xbf7e222b, v16
	v_add_f32_e32 v49, v60, v49
	v_fma_f32 v60, 0x3f62ad3f, v41, -v68
	v_add_f32_e32 v61, v63, v61
	v_fmamk_f32 v63, v58, 0x3f116cb1, v66
	v_fmamk_f32 v68, v18, 0x3df6dbef, v67
	v_mul_f32_e32 v69, 0xbe750f2a, v22
	v_add_f32_e32 v49, v60, v49
	v_fma_f32 v60, 0x3df6dbef, v47, -v65
	v_add_f32_e32 v61, v63, v61
	v_add_f32_e32 v63, v40, v68
	v_fmamk_f32 v65, v20, 0xbf788fa5, v69
	v_mul_f32_e32 v68, 0x3f6f5d39, v46
	v_add_f32_e32 v49, v60, v49
	v_fma_f32 v60, 0xbf788fa5, v53, -v64
	v_fma_f32 v64, 0x3df6dbef, v18, -v67
	v_add_f32_e32 v63, v65, v63
	v_fmamk_f32 v65, v41, 0xbeb58ec6, v68
	v_mul_f32_e32 v67, 0x3eedf032, v48
	v_add_f32_e32 v49, v60, v49
	v_add_f32_e32 v60, v40, v64
	v_fma_f32 v64, 0xbf788fa5, v20, -v69
	v_add_f32_e32 v63, v65, v63
	v_fmamk_f32 v65, v47, 0x3f62ad3f, v67
	v_mul_f32_e32 v69, 0xbf52af12, v55
	v_fma_f32 v66, 0x3f116cb1, v58, -v66
	v_add_f32_e32 v60, v64, v60
	v_fma_f32 v64, 0xbeb58ec6, v41, -v68
	v_add_f32_e32 v63, v65, v63
	v_fmamk_f32 v65, v53, 0x3f116cb1, v69
	v_add_f32_e32 v49, v66, v49
	v_mul_f32_e32 v66, 0xbf52af12, v16
	v_add_f32_e32 v60, v64, v60
	v_fma_f32 v64, 0x3f62ad3f, v47, -v67
	v_add_f32_e32 v63, v65, v63
	v_mul_f32_e32 v65, 0xbf29c268, v59
	v_fmamk_f32 v67, v18, 0x3f116cb1, v66
	v_mul_f32_e32 v68, 0xbf6f5d39, v22
	v_add_f32_e32 v60, v64, v60
	v_fma_f32 v64, 0x3f116cb1, v53, -v69
	v_fmamk_f32 v69, v58, 0xbf3f9e67, v65
	v_add_f32_e32 v67, v40, v67
	v_fmamk_f32 v70, v20, 0xbeb58ec6, v68
	v_mul_f32_e32 v71, 0xbe750f2a, v46
	v_add_f32_e32 v60, v64, v60
	v_fma_f32 v64, 0xbf3f9e67, v58, -v65
	v_fma_f32 v65, 0x3f116cb1, v18, -v66
	v_add_f32_e32 v72, v40, v82
	v_add_f32_e32 v66, v70, v67
	v_fmamk_f32 v67, v41, 0xbf788fa5, v71
	v_add_f32_e32 v60, v64, v60
	v_add_f32_e32 v64, v40, v65
	v_fma_f32 v65, 0xbeb58ec6, v20, -v68
	v_mul_f32_e32 v70, 0x3f29c268, v48
	v_add_f32_e32 v66, v67, v66
	v_mul_f32_e32 v16, 0xbeedf032, v16
	v_mul_f32_e32 v22, 0xbf52af12, v22
	v_add_f32_e32 v64, v65, v64
	v_fma_f32 v65, 0xbf788fa5, v41, -v71
	v_add_f32_e32 v71, v72, v62
	v_fmamk_f32 v67, v47, 0xbf3f9e67, v70
	v_mul_f32_e32 v46, 0xbf7e222b, v46
	v_mul_f32_e32 v48, 0xbf6f5d39, v48
	v_add_f32_e32 v64, v65, v64
	v_fma_f32 v65, 0xbf3f9e67, v47, -v70
	v_add_f32_e32 v70, v71, v52
	v_mul_f32_e32 v68, 0x3f7e222b, v55
	v_add_f32_e32 v66, v67, v66
	v_mul_f32_e32 v72, 0x3eedf032, v59
	v_add_f32_e32 v64, v65, v64
	v_fmamk_f32 v65, v18, 0x3f62ad3f, v16
	v_add_f32_e32 v70, v70, v45
	v_fma_f32 v16, 0x3f62ad3f, v18, -v16
	v_fmamk_f32 v67, v53, 0x3df6dbef, v68
	v_fma_f32 v68, 0x3df6dbef, v53, -v68
	v_add_f32_e32 v18, v40, v65
	v_add_f32_e32 v65, v70, v43
	v_fmamk_f32 v70, v20, 0x3f116cb1, v22
	v_add_f32_e32 v16, v40, v16
	v_fma_f32 v20, 0x3f116cb1, v20, -v22
	v_fmamk_f32 v40, v41, 0x3df6dbef, v46
	v_add_f32_e32 v22, v65, v3
	v_add_f32_e32 v18, v70, v18
	;; [unrolled: 1-line block ×4, first 2 shown]
	v_fmamk_f32 v67, v58, 0x3f62ad3f, v72
	v_add_f32_e32 v20, v22, v4
	v_fma_f32 v22, 0x3df6dbef, v41, -v46
	v_add_f32_e32 v18, v40, v18
	v_fmamk_f32 v40, v47, 0xbeb58ec6, v48
	v_mul_f32_e32 v46, 0xbf29c268, v55
	v_add_f32_e32 v20, v20, v0
	v_add_f32_e32 v16, v22, v16
	v_fma_f32 v22, 0xbeb58ec6, v47, -v48
	v_add_f32_e32 v18, v40, v18
	v_mul_f32_e32 v40, 0xbe750f2a, v59
	v_add_f32_e32 v20, v20, v2
	v_mul_u32_u24_e32 v48, 52, v31
	v_add_f32_e32 v16, v22, v16
	v_fma_f32 v22, 0xbf3f9e67, v53, -v46
	v_fmamk_f32 v46, v53, 0xbf3f9e67, v46
	v_add_f32_e32 v20, v20, v6
	v_or_b32_e32 v48, v48, v29
	v_add_f32_e32 v41, v68, v64
	v_add_f32_e32 v16, v22, v16
	v_fma_f32 v22, 0xbf788fa5, v58, -v40
	v_add_f32_e32 v20, v20, v51
	v_fma_f32 v47, 0x3f62ad3f, v58, -v72
	v_add_f32_e32 v18, v46, v18
	v_fmamk_f32 v40, v58, 0xbf788fa5, v40
	v_add_f32_e32 v16, v22, v16
	v_add_f32_e32 v20, v20, v54
	v_lshl_add_u32 v22, v48, 2, 0
	v_add_f32_e32 v41, v47, v41
	v_add_f32_e32 v46, v69, v63
	;; [unrolled: 1-line block ×4, first 2 shown]
	ds_write2_b32 v22, v20, v16 offset1:4
	ds_write2_b32 v22, v41, v60 offset0:8 offset1:12
	ds_write2_b32 v22, v49, v56 offset0:16 offset1:20
	;; [unrolled: 1-line block ×5, first 2 shown]
	ds_write_b32 v22, v18 offset:192
.LBB0_33:
	s_or_b32 exec_lo, exec_lo, s1
	v_add_f32_e32 v16, v42, v111
	v_sub_f32_e32 v18, v112, v39
	v_add_f32_e32 v20, v111, v108
	v_sub_f32_e32 v21, v21, v23
	v_add_f32_e32 v22, v110, v109
	v_add_f32_e32 v16, v16, v110
	v_mul_f32_e32 v23, 0xbeedf032, v18
	v_mul_f32_e32 v39, 0xbf52af12, v18
	;; [unrolled: 1-line block ×4, first 2 shown]
	v_add_f32_e32 v16, v16, v106
	v_mul_f32_e32 v44, 0xbf29c268, v18
	v_mul_f32_e32 v18, 0xbe750f2a, v18
	;; [unrolled: 1-line block ×4, first 2 shown]
	v_add_f32_e32 v16, v16, v104
	v_fmamk_f32 v50, v20, 0x3f62ad3f, v23
	v_fma_f32 v23, 0x3f62ad3f, v20, -v23
	v_fmamk_f32 v53, v20, 0x3f116cb1, v39
	v_fma_f32 v39, 0x3f116cb1, v20, -v39
	v_add_f32_e32 v16, v16, v100
	v_mul_f32_e32 v48, 0xbe750f2a, v21
	v_mul_f32_e32 v49, 0x3f29c268, v21
	v_fmamk_f32 v55, v20, 0x3df6dbef, v40
	v_fma_f32 v40, 0x3df6dbef, v20, -v40
	v_add_f32_e32 v16, v16, v13
	v_fmamk_f32 v56, v20, 0xbeb58ec6, v41
	v_fma_f32 v41, 0xbeb58ec6, v20, -v41
	v_fmamk_f32 v57, v20, 0xbf3f9e67, v44
	v_fma_f32 v44, 0xbf3f9e67, v20, -v44
	v_add_f32_e32 v16, v16, v15
	v_fmamk_f32 v58, v20, 0xbf788fa5, v18
	v_fma_f32 v18, 0xbf788fa5, v20, -v18
	;; [unrolled: 5-line block ×3, first 2 shown]
	v_add_f32_e32 v23, v42, v23
	v_add_f32_e32 v39, v42, v39
	;; [unrolled: 1-line block ×14, first 2 shown]
	v_fmamk_f32 v42, v22, 0xbf788fa5, v48
	v_add_f32_e32 v39, v47, v39
	v_fma_f32 v46, 0xbf788fa5, v22, -v48
	v_fmamk_f32 v47, v22, 0xbf3f9e67, v49
	v_fma_f32 v48, 0xbf3f9e67, v22, -v49
	v_mul_f32_e32 v49, 0x3f7e222b, v21
	v_sub_f32_e32 v17, v17, v19
	v_add_f32_e32 v16, v16, v107
	v_add_f32_e32 v40, v46, v40
	;; [unrolled: 1-line block ×4, first 2 shown]
	v_fmamk_f32 v19, v22, 0x3df6dbef, v49
	v_mul_f32_e32 v21, 0x3eedf032, v21
	v_fma_f32 v47, 0x3df6dbef, v22, -v49
	v_add_f32_e32 v48, v106, v107
	v_mul_f32_e32 v49, 0xbf7e222b, v17
	v_add_f32_e32 v16, v16, v109
	v_add_f32_e32 v20, v20, v50
	v_fmamk_f32 v50, v22, 0x3f62ad3f, v21
	v_fma_f32 v21, 0x3f62ad3f, v22, -v21
	v_add_f32_e32 v22, v47, v44
	v_fmamk_f32 v44, v48, 0x3df6dbef, v49
	v_mul_f32_e32 v47, 0xbe750f2a, v17
	v_add_f32_e32 v60, v16, v108
	v_add_f32_e32 v16, v59, v53
	;; [unrolled: 1-line block ×3, first 2 shown]
	v_fma_f32 v21, 0x3df6dbef, v48, -v49
	v_add_f32_e32 v20, v44, v20
	v_fmamk_f32 v44, v48, 0xbf788fa5, v47
	v_mul_f32_e32 v49, 0x3f6f5d39, v17
	v_add_f32_e32 v42, v42, v55
	v_fma_f32 v47, 0xbf788fa5, v48, -v47
	v_add_f32_e32 v21, v21, v23
	v_mul_f32_e32 v23, 0x3eedf032, v17
	v_add_f32_e32 v16, v44, v16
	v_fmamk_f32 v44, v48, 0xbeb58ec6, v49
	v_add_f32_e32 v39, v47, v39
	v_fma_f32 v47, 0xbeb58ec6, v48, -v49
	v_fmamk_f32 v49, v48, 0x3f62ad3f, v23
	v_fma_f32 v23, 0x3f62ad3f, v48, -v23
	v_add_f32_e32 v42, v44, v42
	v_mul_f32_e32 v44, 0xbf52af12, v17
	v_sub_f32_e32 v12, v12, v14
	v_add_f32_e32 v19, v19, v57
	v_add_f32_e32 v40, v47, v40
	;; [unrolled: 1-line block ×3, first 2 shown]
	v_fmamk_f32 v14, v48, 0x3f116cb1, v44
	v_mul_f32_e32 v17, 0xbf29c268, v17
	v_fma_f32 v41, 0x3f116cb1, v48, -v44
	v_add_f32_e32 v44, v104, v105
	v_mul_f32_e32 v47, 0xbf6f5d39, v12
	v_add_f32_e32 v14, v14, v19
	v_fmamk_f32 v19, v48, 0xbf3f9e67, v17
	v_fma_f32 v17, 0xbf3f9e67, v48, -v17
	v_add_f32_e32 v22, v41, v22
	v_fmamk_f32 v41, v44, 0xbeb58ec6, v47
	v_mul_f32_e32 v48, 0x3f29c268, v12
	v_sub_f32_e32 v10, v10, v11
	v_add_f32_e32 v17, v17, v18
	v_fma_f32 v18, 0xbeb58ec6, v44, -v47
	v_add_f32_e32 v20, v41, v20
	v_fmamk_f32 v41, v44, 0xbf3f9e67, v48
	v_mul_f32_e32 v47, 0x3eedf032, v12
	v_fma_f32 v48, 0xbf3f9e67, v44, -v48
	v_add_f32_e32 v18, v18, v21
	v_mul_f32_e32 v21, 0xbf7e222b, v12
	v_add_f32_e32 v16, v41, v16
	v_fmamk_f32 v41, v44, 0x3f62ad3f, v47
	v_add_f32_e32 v39, v48, v39
	v_fma_f32 v47, 0x3f62ad3f, v44, -v47
	v_fmamk_f32 v48, v44, 0x3df6dbef, v21
	v_fma_f32 v21, 0x3df6dbef, v44, -v21
	v_add_f32_e32 v41, v41, v42
	v_mul_f32_e32 v42, 0x3e750f2a, v12
	v_add_f32_e32 v40, v47, v40
	v_mul_f32_e32 v12, 0x3f52af12, v12
	;; [unrolled: 2-line block ×3, first 2 shown]
	v_fmamk_f32 v11, v44, 0xbf788fa5, v42
	v_fma_f32 v23, 0xbf788fa5, v44, -v42
	v_add_f32_e32 v42, v100, v101
	v_add_f32_e32 v50, v50, v58
	v_sub_f32_e32 v8, v8, v9
	v_add_f32_e32 v11, v11, v14
	v_fmamk_f32 v14, v44, 0x3f116cb1, v12
	v_add_f32_e32 v22, v23, v22
	v_fma_f32 v12, 0x3f116cb1, v44, -v12
	v_fmamk_f32 v23, v42, 0xbf3f9e67, v47
	v_mul_f32_e32 v44, 0x3f7e222b, v10
	v_add_f32_e32 v19, v19, v50
	v_mul_f32_e32 v9, 0xbf6f5d39, v10
	v_add_f32_e32 v12, v12, v17
	v_add_f32_e32 v17, v23, v20
	v_fmamk_f32 v20, v42, 0x3df6dbef, v44
	v_mul_f32_e32 v23, 0xbf52af12, v10
	v_add_f32_e32 v14, v14, v19
	v_fma_f32 v19, 0xbf3f9e67, v42, -v47
	v_add_f32_e32 v55, v13, v15
	v_add_f32_e32 v16, v20, v16
	v_fmamk_f32 v20, v42, 0x3f116cb1, v23
	v_fma_f32 v23, 0x3f116cb1, v42, -v23
	v_add_f32_e32 v18, v19, v18
	v_fma_f32 v19, 0x3df6dbef, v42, -v44
	v_mul_f32_e32 v44, 0x3e750f2a, v10
	v_mul_f32_e32 v13, 0xbe750f2a, v8
	v_add_f32_e32 v23, v23, v40
	v_mul_f32_e32 v40, 0x3eedf032, v10
	v_add_f32_e32 v46, v49, v46
	v_fmamk_f32 v15, v42, 0xbeb58ec6, v9
	v_fma_f32 v9, 0xbeb58ec6, v42, -v9
	v_add_f32_e32 v19, v19, v39
	v_fmamk_f32 v10, v42, 0x3f62ad3f, v40
	v_add_f32_e32 v46, v48, v46
	v_fmamk_f32 v39, v42, 0xbf788fa5, v44
	v_fma_f32 v44, 0xbf788fa5, v42, -v44
	v_add_f32_e32 v59, v9, v12
	v_add_f32_e32 v56, v10, v11
	v_fmamk_f32 v10, v55, 0xbf788fa5, v13
	v_fma_f32 v11, 0xbf788fa5, v55, -v13
	v_mul_f32_e32 v9, 0x3eedf032, v8
	v_add_f32_e32 v20, v20, v41
	v_add_f32_e32 v39, v39, v46
	;; [unrolled: 1-line block ×3, first 2 shown]
	v_mul_f32_e32 v10, 0xbf29c268, v8
	v_add_f32_e32 v63, v11, v18
	v_mul_f32_e32 v11, 0x3f52af12, v8
	v_add_f32_e32 v44, v44, v21
	v_fma_f32 v21, 0x3f62ad3f, v42, -v40
	v_add_f32_e32 v58, v15, v14
	v_fmamk_f32 v12, v55, 0x3f62ad3f, v9
	v_fma_f32 v9, 0x3f62ad3f, v55, -v9
	v_fmamk_f32 v13, v55, 0xbf3f9e67, v10
	v_fma_f32 v10, 0xbf3f9e67, v55, -v10
	v_fmamk_f32 v14, v55, 0x3f116cb1, v11
	v_add_nc_u32_e32 v46, 0x400, v87
	v_add_nc_u32_e32 v47, 0x800, v87
	;; [unrolled: 1-line block ×5, first 2 shown]
	v_add_f32_e32 v57, v21, v22
	v_add_f32_e32 v64, v12, v16
	;; [unrolled: 1-line block ×6, first 2 shown]
	v_fma_f32 v69, 0x3f116cb1, v55, -v11
	v_mul_f32_e32 v70, 0xbf6f5d39, v8
	v_mul_f32_e32 v71, 0x3f7e222b, v8
	s_waitcnt lgkmcnt(0)
	s_barrier
	buffer_gl0_inv
	ds_read2_b32 v[20:21], v87 offset1:52
	ds_read2_b32 v[8:9], v87 offset0:104 offset1:156
	ds_read2_b32 v[22:23], v46 offset0:56 offset1:108
	;; [unrolled: 1-line block ×9, first 2 shown]
	ds_read_b32 v53, v87 offset:4160
	v_fmamk_f32 v72, v55, 0xbeb58ec6, v70
	v_fma_f32 v70, 0xbeb58ec6, v55, -v70
	v_fmamk_f32 v73, v55, 0x3df6dbef, v71
	v_fma_f32 v55, 0x3df6dbef, v55, -v71
	v_add_f32_e32 v44, v69, v44
	v_add_f32_e32 v56, v72, v56
	;; [unrolled: 1-line block ×5, first 2 shown]
	s_waitcnt lgkmcnt(0)
	s_barrier
	buffer_gl0_inv
	ds_write2_b32 v98, v60, v61 offset1:4
	ds_write2_b32 v98, v64, v66 offset0:8 offset1:12
	ds_write2_b32 v98, v68, v56 offset0:16 offset1:20
	ds_write2_b32 v98, v58, v55 offset0:24 offset1:28
	ds_write2_b32 v98, v57, v44 offset0:32 offset1:36
	ds_write2_b32 v98, v67, v65 offset0:40 offset1:44
	ds_write_b32 v98, v63 offset:192
	s_and_saveexec_b32 s1, s0
	s_cbranch_execz .LBB0_35
; %bb.34:
	v_sub_f32_e32 v54, v82, v54
	v_add_f32_e32 v55, v96, v93
	v_sub_f32_e32 v51, v62, v51
	v_add_f32_e32 v56, v95, v94
	v_add_f32_e32 v44, v38, v96
	v_mul_f32_e32 v57, 0xbeedf032, v54
	v_mul_f32_e32 v58, 0xbf52af12, v54
	;; [unrolled: 1-line block ×8, first 2 shown]
	v_fmamk_f32 v66, v55, 0x3f62ad3f, v57
	v_fma_f32 v57, 0x3f62ad3f, v55, -v57
	v_fmamk_f32 v67, v55, 0x3f116cb1, v58
	v_fma_f32 v58, 0x3f116cb1, v55, -v58
	v_mul_f32_e32 v64, 0xbe750f2a, v51
	v_mul_f32_e32 v65, 0x3f29c268, v51
	v_fmamk_f32 v68, v55, 0x3df6dbef, v59
	v_fma_f32 v59, 0x3df6dbef, v55, -v59
	v_fmamk_f32 v69, v55, 0xbeb58ec6, v60
	v_fma_f32 v60, 0xbeb58ec6, v55, -v60
	;; [unrolled: 2-line block ×6, first 2 shown]
	v_add_f32_e32 v66, v38, v66
	v_add_f32_e32 v57, v38, v57
	;; [unrolled: 1-line block ×14, first 2 shown]
	v_fmamk_f32 v62, v56, 0xbf788fa5, v64
	v_add_f32_e32 v58, v63, v58
	v_fma_f32 v63, 0xbf788fa5, v56, -v64
	v_fmamk_f32 v64, v56, 0xbf3f9e67, v65
	v_fma_f32 v65, 0xbf3f9e67, v56, -v65
	v_mul_f32_e32 v66, 0x3f7e222b, v51
	v_sub_f32_e32 v6, v52, v6
	v_add_f32_e32 v59, v63, v59
	v_add_f32_e32 v63, v64, v69
	;; [unrolled: 1-line block ×3, first 2 shown]
	v_fmamk_f32 v52, v56, 0x3df6dbef, v66
	v_mul_f32_e32 v51, 0x3eedf032, v51
	v_fma_f32 v64, 0x3df6dbef, v56, -v66
	v_add_f32_e32 v65, v91, v92
	v_mul_f32_e32 v66, 0xbf7e222b, v6
	v_add_f32_e32 v57, v72, v67
	v_fmamk_f32 v67, v56, 0x3f62ad3f, v51
	v_fma_f32 v51, 0x3f62ad3f, v56, -v51
	v_add_f32_e32 v56, v64, v61
	v_fmamk_f32 v61, v65, 0x3df6dbef, v66
	v_mul_f32_e32 v64, 0xbe750f2a, v6
	v_add_f32_e32 v62, v62, v68
	v_add_f32_e32 v38, v51, v38
	v_fma_f32 v51, 0x3df6dbef, v65, -v66
	v_add_f32_e32 v54, v61, v54
	v_fmamk_f32 v61, v65, 0xbf788fa5, v64
	v_mul_f32_e32 v66, 0x3f6f5d39, v6
	v_fma_f32 v64, 0xbf788fa5, v65, -v64
	v_add_f32_e32 v51, v51, v55
	v_mul_f32_e32 v55, 0x3eedf032, v6
	v_add_f32_e32 v57, v61, v57
	v_fmamk_f32 v61, v65, 0xbeb58ec6, v66
	v_add_f32_e32 v44, v44, v95
	v_add_f32_e32 v58, v64, v58
	v_fma_f32 v64, 0xbeb58ec6, v65, -v66
	v_fmamk_f32 v66, v65, 0x3f62ad3f, v55
	v_fma_f32 v55, 0x3f62ad3f, v65, -v55
	v_add_f32_e32 v61, v61, v62
	v_mul_f32_e32 v62, 0xbf52af12, v6
	v_sub_f32_e32 v2, v45, v2
	v_add_f32_e32 v44, v44, v91
	v_add_f32_e32 v52, v52, v70
	;; [unrolled: 1-line block ×4, first 2 shown]
	v_fmamk_f32 v45, v65, 0x3f116cb1, v62
	v_mul_f32_e32 v6, 0xbf29c268, v6
	v_fma_f32 v60, 0x3f116cb1, v65, -v62
	v_add_f32_e32 v62, v89, v90
	v_mul_f32_e32 v64, 0xbf6f5d39, v2
	v_add_f32_e32 v44, v44, v89
	v_add_f32_e32 v45, v45, v52
	v_fmamk_f32 v52, v65, 0xbf3f9e67, v6
	v_add_f32_e32 v56, v60, v56
	v_fma_f32 v6, 0xbf3f9e67, v65, -v6
	v_fmamk_f32 v60, v62, 0xbeb58ec6, v64
	v_mul_f32_e32 v65, 0x3f29c268, v2
	v_add_f32_e32 v44, v44, v88
	v_fma_f32 v64, 0xbeb58ec6, v62, -v64
	v_add_f32_e32 v6, v6, v38
	v_add_f32_e32 v38, v60, v54
	v_fmamk_f32 v54, v62, 0xbf3f9e67, v65
	v_mul_f32_e32 v60, 0x3eedf032, v2
	v_add_f32_e32 v44, v44, v5
	v_add_f32_e32 v51, v64, v51
	v_fma_f32 v64, 0xbf3f9e67, v62, -v65
	v_mul_f32_e32 v65, 0xbf7e222b, v2
	v_add_f32_e32 v54, v54, v57
	v_fmamk_f32 v57, v62, 0x3f62ad3f, v60
	v_fma_f32 v60, 0x3f62ad3f, v62, -v60
	v_add_f32_e32 v44, v44, v1
	v_add_f32_e32 v63, v66, v63
	;; [unrolled: 1-line block ×3, first 2 shown]
	v_fmamk_f32 v64, v62, 0x3df6dbef, v65
	v_add_f32_e32 v59, v60, v59
	v_mul_f32_e32 v60, 0x3e750f2a, v2
	v_sub_f32_e32 v0, v43, v0
	v_add_f32_e32 v44, v44, v7
	v_add_f32_e32 v57, v57, v61
	;; [unrolled: 1-line block ×3, first 2 shown]
	v_mul_f32_e32 v2, 0x3f52af12, v2
	v_fmamk_f32 v43, v62, 0xbf788fa5, v60
	v_fma_f32 v60, 0xbf788fa5, v62, -v60
	v_add_f32_e32 v7, v88, v7
	v_mul_f32_e32 v63, 0xbf29c268, v0
	v_fmamk_f32 v64, v62, 0x3f116cb1, v2
	v_add_f32_e32 v43, v43, v45
	v_add_f32_e32 v45, v60, v56
	v_fma_f32 v2, 0x3f116cb1, v62, -v2
	v_fmamk_f32 v56, v7, 0xbf3f9e67, v63
	v_fma_f32 v65, 0x3df6dbef, v62, -v65
	v_mul_f32_e32 v60, 0x3f7e222b, v0
	v_fma_f32 v62, 0xbf3f9e67, v7, -v63
	v_add_f32_e32 v2, v2, v6
	v_add_f32_e32 v6, v56, v38
	v_mul_f32_e32 v38, 0xbf52af12, v0
	v_add_f32_e32 v67, v67, v71
	v_fmamk_f32 v56, v7, 0x3df6dbef, v60
	v_add_f32_e32 v51, v62, v51
	v_fma_f32 v60, 0x3df6dbef, v7, -v60
	v_mul_f32_e32 v62, 0x3e750f2a, v0
	v_fmamk_f32 v63, v7, 0x3f116cb1, v38
	v_fma_f32 v38, 0x3f116cb1, v7, -v38
	v_add_f32_e32 v52, v52, v67
	v_add_f32_e32 v55, v65, v55
	;; [unrolled: 1-line block ×4, first 2 shown]
	v_fma_f32 v60, 0xbf788fa5, v7, -v62
	v_add_f32_e32 v38, v38, v59
	v_mul_f32_e32 v59, 0x3eedf032, v0
	v_mul_f32_e32 v0, 0xbf6f5d39, v0
	v_sub_f32_e32 v3, v3, v4
	v_add_f32_e32 v52, v64, v52
	v_add_f32_e32 v55, v60, v55
	v_fmamk_f32 v4, v7, 0x3f62ad3f, v59
	v_fma_f32 v59, 0x3f62ad3f, v7, -v59
	v_fmamk_f32 v60, v7, 0xbeb58ec6, v0
	v_add_f32_e32 v1, v5, v1
	v_mul_f32_e32 v5, 0xbe750f2a, v3
	v_fmamk_f32 v58, v7, 0xbf788fa5, v62
	v_add_f32_e32 v4, v4, v43
	v_add_f32_e32 v43, v59, v45
	v_fma_f32 v0, 0xbeb58ec6, v7, -v0
	v_add_f32_e32 v7, v60, v52
	v_fmamk_f32 v45, v1, 0xbf788fa5, v5
	v_fma_f32 v5, 0xbf788fa5, v1, -v5
	v_mul_f32_e32 v52, 0x3eedf032, v3
	v_add_f32_e32 v44, v44, v90
	v_add_f32_e32 v0, v0, v2
	v_mul_f32_e32 v2, 0xbf29c268, v3
	v_add_f32_e32 v5, v5, v51
	v_fma_f32 v51, 0x3f62ad3f, v1, -v52
	v_add_f32_e32 v6, v45, v6
	v_fmamk_f32 v45, v1, 0x3f62ad3f, v52
	v_mul_f32_e32 v59, 0x3f52af12, v3
	v_add_f32_e32 v44, v44, v92
	v_mul_u32_u24_e32 v31, 52, v31
	v_fmamk_f32 v52, v1, 0xbf3f9e67, v2
	v_fma_f32 v2, 0xbf3f9e67, v1, -v2
	v_add_f32_e32 v51, v51, v56
	v_mul_f32_e32 v56, 0xbf6f5d39, v3
	v_add_f32_e32 v45, v45, v54
	v_fma_f32 v54, 0x3f116cb1, v1, -v59
	v_mul_f32_e32 v3, 0x3f7e222b, v3
	v_add_f32_e32 v44, v44, v94
	v_or_b32_e32 v29, v31, v29
	v_add_f32_e32 v57, v63, v57
	v_add_f32_e32 v58, v58, v61
	;; [unrolled: 1-line block ×3, first 2 shown]
	v_fmamk_f32 v38, v1, 0x3f116cb1, v59
	v_fmamk_f32 v31, v1, 0xbeb58ec6, v56
	v_add_f32_e32 v54, v54, v55
	v_fmamk_f32 v55, v1, 0x3df6dbef, v3
	v_fma_f32 v3, 0x3df6dbef, v1, -v3
	v_fma_f32 v1, 0xbeb58ec6, v1, -v56
	v_add_f32_e32 v44, v44, v93
	v_lshl_add_u32 v29, v29, 2, 0
	v_add_f32_e32 v52, v52, v57
	v_add_f32_e32 v38, v38, v58
	;; [unrolled: 1-line block ×6, first 2 shown]
	ds_write2_b32 v29, v44, v6 offset1:4
	ds_write2_b32 v29, v45, v52 offset0:8 offset1:12
	ds_write2_b32 v29, v38, v4 offset0:16 offset1:20
	ds_write2_b32 v29, v7, v0 offset0:24 offset1:28
	ds_write2_b32 v29, v1, v54 offset0:32 offset1:36
	ds_write2_b32 v29, v2, v51 offset0:40 offset1:44
	ds_write_b32 v29, v5 offset:192
.LBB0_35:
	s_or_b32 exec_lo, exec_lo, s1
	v_mul_u32_u24_e32 v0, 6, v86
	s_waitcnt lgkmcnt(0)
	s_barrier
	buffer_gl0_inv
	v_lshlrev_b32_e32 v0, 3, v0
	s_clause 0x2
	global_load_dwordx4 v[54:57], v0, s[12:13] offset:400
	global_load_dwordx4 v[58:61], v0, s[12:13] offset:416
	;; [unrolled: 1-line block ×3, first 2 shown]
	v_and_b32_e32 v0, 0xff, v36
	v_mul_lo_u16 v0, 0x4f, v0
	v_lshrrev_b16 v0, 12, v0
	v_mul_lo_u16 v0, v0, 52
	v_sub_nc_u16 v0, v36, v0
	v_and_b32_e32 v29, 0xff, v0
	v_mul_u32_u24_e32 v0, 6, v29
	v_lshl_add_u32 v29, v29, 2, 0
	v_lshlrev_b32_e32 v0, 3, v0
	v_add_nc_u32_e32 v36, 0xa00, v29
	v_add_nc_u32_e32 v38, 0xc00, v29
	s_clause 0x2
	global_load_dwordx4 v[66:69], v0, s[12:13] offset:400
	global_load_dwordx4 v[4:7], v0, s[12:13] offset:416
	;; [unrolled: 1-line block ×3, first 2 shown]
	ds_read2_b32 v[43:44], v87 offset0:104 offset1:156
	ds_read2_b32 v[51:52], v46 offset0:56 offset1:108
	;; [unrolled: 1-line block ×4, first 2 shown]
	ds_read2_b32 v[74:75], v87 offset1:52
	ds_read2_b32 v[76:77], v50 offset0:88 offset1:140
	ds_read2_b32 v[78:79], v49 offset0:168 offset1:220
	;; [unrolled: 1-line block ×5, first 2 shown]
	ds_read_b32 v31, v87 offset:4160
	s_waitcnt vmcnt(0) lgkmcnt(0)
	s_barrier
	buffer_gl0_inv
	v_mul_f32_e32 v45, v44, v55
	v_mul_f32_e32 v88, v9, v55
	;; [unrolled: 1-line block ×24, first 2 shown]
	v_fma_f32 v9, v9, v54, -v45
	v_fmac_f32_e32 v88, v44, v54
	v_fma_f32 v22, v22, v56, -v89
	v_fmac_f32_e32 v90, v51, v56
	;; [unrolled: 2-line block ×6, first 2 shown]
	v_fmac_f32_e32 v55, v80, v54
	v_fmac_f32_e32 v57, v52, v56
	;; [unrolled: 1-line block ×4, first 2 shown]
	v_fma_f32 v18, v18, v54, -v99
	v_fma_f32 v23, v23, v56, -v100
	;; [unrolled: 1-line block ×3, first 2 shown]
	v_fmac_f32_e32 v59, v82, v58
	v_fma_f32 v42, v42, v60, -v102
	v_fmac_f32_e32 v61, v73, v60
	v_fma_f32 v14, v14, v62, -v103
	v_fma_f32 v40, v40, v64, -v104
	v_add_f32_e32 v44, v9, v39
	v_add_f32_e32 v45, v88, v98
	v_sub_f32_e32 v9, v9, v39
	v_sub_f32_e32 v39, v88, v98
	v_add_f32_e32 v51, v22, v11
	v_add_f32_e32 v52, v90, v96
	v_sub_f32_e32 v11, v22, v11
	v_sub_f32_e32 v22, v90, v96
	;; [unrolled: 4-line block ×3, first 2 shown]
	v_add_f32_e32 v60, v55, v65
	v_add_f32_e32 v62, v57, v63
	;; [unrolled: 1-line block ×3, first 2 shown]
	v_sub_f32_e32 v18, v18, v40
	v_sub_f32_e32 v40, v55, v65
	v_add_f32_e32 v55, v23, v14
	v_sub_f32_e32 v14, v23, v14
	v_sub_f32_e32 v23, v57, v63
	v_add_f32_e32 v57, v16, v42
	v_add_f32_e32 v63, v59, v61
	v_sub_f32_e32 v16, v42, v16
	v_sub_f32_e32 v42, v61, v59
	v_add_f32_e32 v59, v51, v44
	v_add_f32_e32 v61, v52, v45
	v_sub_f32_e32 v64, v51, v44
	v_sub_f32_e32 v65, v52, v45
	;; [unrolled: 1-line block ×6, first 2 shown]
	v_add_f32_e32 v71, v13, v11
	v_add_f32_e32 v72, v41, v22
	v_sub_f32_e32 v73, v13, v11
	v_sub_f32_e32 v77, v41, v22
	v_sub_f32_e32 v22, v22, v39
	v_add_f32_e32 v79, v62, v60
	v_sub_f32_e32 v13, v9, v13
	v_sub_f32_e32 v41, v39, v41
	v_sub_f32_e32 v11, v11, v9
	v_add_f32_e32 v78, v55, v58
	v_sub_f32_e32 v80, v55, v58
	v_sub_f32_e32 v82, v62, v60
	v_sub_f32_e32 v58, v58, v57
	v_sub_f32_e32 v60, v60, v63
	v_sub_f32_e32 v55, v57, v55
	;; [unrolled: 1-line block ×3, first 2 shown]
	v_add_f32_e32 v84, v16, v14
	v_add_f32_e32 v88, v42, v23
	v_sub_f32_e32 v89, v16, v14
	v_sub_f32_e32 v90, v42, v23
	;; [unrolled: 1-line block ×4, first 2 shown]
	v_add_f32_e32 v54, v54, v59
	v_add_f32_e32 v56, v56, v61
	;; [unrolled: 1-line block ×4, first 2 shown]
	v_mul_f32_e32 v44, 0x3f4a47b2, v44
	v_mul_f32_e32 v45, 0x3f4a47b2, v45
	;; [unrolled: 1-line block ×7, first 2 shown]
	v_add_f32_e32 v63, v63, v79
	v_sub_f32_e32 v16, v18, v16
	v_sub_f32_e32 v42, v40, v42
	v_mul_f32_e32 v73, 0x3f5ff5aa, v11
	v_add_f32_e32 v57, v57, v78
	v_add_f32_e32 v18, v84, v18
	;; [unrolled: 1-line block ×3, first 2 shown]
	v_mul_f32_e32 v58, 0x3f4a47b2, v58
	v_mul_f32_e32 v60, 0x3f4a47b2, v60
	;; [unrolled: 1-line block ×8, first 2 shown]
	v_add_f32_e32 v74, v74, v56
	v_fmamk_f32 v51, v51, 0x3d64c772, v44
	v_fmamk_f32 v52, v52, 0x3d64c772, v45
	v_fma_f32 v59, 0x3f3bfb3b, v64, -v59
	v_fma_f32 v61, 0x3f3bfb3b, v65, -v61
	;; [unrolled: 1-line block ×4, first 2 shown]
	v_fmamk_f32 v64, v13, 0x3eae86e6, v71
	v_fmamk_f32 v65, v41, 0x3eae86e6, v72
	v_fma_f32 v11, 0x3f5ff5aa, v11, -v71
	v_fma_f32 v22, 0x3f5ff5aa, v22, -v72
	;; [unrolled: 1-line block ×3, first 2 shown]
	v_add_f32_e32 v71, v75, v63
	v_add_f32_e32 v20, v20, v54
	v_fma_f32 v13, 0xbeae86e6, v13, -v73
	v_add_f32_e32 v21, v21, v57
	v_fmamk_f32 v55, v55, 0x3d64c772, v58
	v_fmamk_f32 v62, v62, 0x3d64c772, v60
	v_fma_f32 v72, 0x3f3bfb3b, v80, -v78
	v_fma_f32 v73, 0x3f3bfb3b, v82, -v79
	;; [unrolled: 1-line block ×4, first 2 shown]
	v_fmamk_f32 v75, v16, 0x3eae86e6, v84
	v_fmamk_f32 v77, v42, 0x3eae86e6, v88
	v_fma_f32 v14, 0x3f5ff5aa, v14, -v84
	v_fma_f32 v23, 0x3f5ff5aa, v23, -v88
	;; [unrolled: 1-line block ×4, first 2 shown]
	v_mul_f32_e32 v78, v81, v67
	v_mul_f32_e32 v79, v70, v69
	;; [unrolled: 1-line block ×9, first 2 shown]
	v_fmamk_f32 v56, v56, 0xbf955555, v74
	v_fmac_f32_e32 v65, 0x3ee1c552, v39
	v_fmac_f32_e32 v22, 0x3ee1c552, v39
	;; [unrolled: 1-line block ×3, first 2 shown]
	v_fmamk_f32 v39, v63, 0xbf955555, v71
	v_mul_f32_e32 v67, v19, v67
	v_mul_f32_e32 v69, v12, v69
	;; [unrolled: 1-line block ×3, first 2 shown]
	v_fmamk_f32 v54, v54, 0xbf955555, v20
	v_fmac_f32_e32 v64, 0x3ee1c552, v9
	v_fmac_f32_e32 v11, 0x3ee1c552, v9
	;; [unrolled: 1-line block ×3, first 2 shown]
	v_fmamk_f32 v9, v57, 0xbf955555, v21
	v_fmac_f32_e32 v75, 0x3ee1c552, v18
	v_fmac_f32_e32 v77, 0x3ee1c552, v40
	v_fmac_f32_e32 v14, 0x3ee1c552, v18
	v_fmac_f32_e32 v23, 0x3ee1c552, v40
	v_fmac_f32_e32 v16, 0x3ee1c552, v18
	v_fmac_f32_e32 v42, 0x3ee1c552, v40
	v_fma_f32 v18, v19, v66, -v78
	v_fma_f32 v12, v12, v68, -v79
	;; [unrolled: 1-line block ×3, first 2 shown]
	v_fmac_f32_e32 v5, v83, v4
	v_fma_f32 v4, v10, v6, -v82
	v_fmac_f32_e32 v7, v76, v6
	v_fma_f32 v6, v15, v0, -v84
	;; [unrolled: 2-line block ×3, first 2 shown]
	v_add_f32_e32 v10, v52, v56
	v_add_f32_e32 v40, v45, v56
	v_add_f32_e32 v45, v62, v39
	v_add_f32_e32 v52, v73, v39
	v_add_f32_e32 v39, v60, v39
	v_fmac_f32_e32 v67, v81, v66
	v_fmac_f32_e32 v69, v70, v68
	;; [unrolled: 1-line block ×3, first 2 shown]
	v_add_f32_e32 v2, v51, v54
	v_add_f32_e32 v15, v59, v54
	;; [unrolled: 1-line block ×7, first 2 shown]
	v_sub_f32_e32 v59, v39, v16
	v_add_f32_e32 v39, v16, v39
	v_add_f32_e32 v16, v18, v0
	v_sub_f32_e32 v0, v18, v0
	v_add_f32_e32 v18, v12, v6
	v_add_f32_e32 v53, v65, v2
	v_sub_f32_e32 v54, v10, v64
	v_add_f32_e32 v55, v41, v31
	v_sub_f32_e32 v56, v40, v13
	v_sub_f32_e32 v57, v15, v22
	v_add_f32_e32 v58, v11, v19
	v_add_f32_e32 v15, v22, v15
	v_sub_f32_e32 v22, v19, v11
	v_sub_f32_e32 v11, v31, v41
	v_add_f32_e32 v31, v13, v40
	v_add_f32_e32 v40, v64, v10
	;; [unrolled: 1-line block ×3, first 2 shown]
	v_sub_f32_e32 v41, v45, v75
	v_add_f32_e32 v13, v42, v9
	v_sub_f32_e32 v19, v51, v23
	v_add_f32_e32 v60, v14, v52
	v_add_f32_e32 v23, v23, v51
	v_sub_f32_e32 v51, v52, v14
	v_sub_f32_e32 v9, v9, v42
	v_sub_f32_e32 v14, v44, v77
	v_add_f32_e32 v42, v75, v45
	v_add_f32_e32 v44, v67, v3
	;; [unrolled: 1-line block ×3, first 2 shown]
	v_sub_f32_e32 v6, v12, v6
	v_sub_f32_e32 v1, v69, v1
	v_add_f32_e32 v12, v17, v4
	v_add_f32_e32 v52, v5, v7
	v_sub_f32_e32 v4, v4, v17
	v_sub_f32_e32 v5, v7, v5
	v_add_f32_e32 v7, v18, v16
	v_sub_f32_e32 v3, v67, v3
	v_sub_f32_e32 v2, v2, v65
	;; [unrolled: 3-line block ×4, first 2 shown]
	v_sub_f32_e32 v6, v6, v0
	ds_write2_b32 v87, v20, v53 offset1:52
	ds_write2_b32 v87, v55, v57 offset0:104 offset1:156
	ds_write2_b32 v48, v15, v11 offset0:80 offset1:132
	;; [unrolled: 1-line block ×6, first 2 shown]
	v_add_f32_e32 v2, v12, v7
	v_sub_f32_e32 v18, v12, v18
	v_add_f32_e32 v64, v5, v1
	v_sub_f32_e32 v1, v1, v3
	v_sub_f32_e32 v62, v45, v44
	;; [unrolled: 1-line block ×6, first 2 shown]
	v_add_f32_e32 v7, v52, v17
	v_mul_f32_e32 v9, 0x3f4a47b2, v16
	v_mul_f32_e32 v13, 0xbf08b237, v65
	;; [unrolled: 1-line block ×4, first 2 shown]
	v_add_f32_e32 v8, v8, v2
	v_mul_f32_e32 v11, 0x3d64c772, v18
	v_mul_f32_e32 v16, 0x3f5ff5aa, v1
	v_add_f32_e32 v0, v63, v0
	v_add_f32_e32 v3, v64, v3
	v_mul_f32_e32 v10, 0x3f4a47b2, v44
	v_mul_f32_e32 v12, 0x3d64c772, v45
	v_add_f32_e32 v21, v43, v7
	v_fmamk_f32 v17, v18, 0x3d64c772, v9
	v_fmamk_f32 v23, v4, 0x3eae86e6, v13
	;; [unrolled: 1-line block ×3, first 2 shown]
	v_fma_f32 v6, 0x3f5ff5aa, v6, -v13
	v_fma_f32 v43, 0xbeae86e6, v4, -v15
	v_fmamk_f32 v2, v2, 0xbf955555, v8
	v_fma_f32 v11, 0x3f3bfb3b, v61, -v11
	v_fma_f32 v9, 0xbf3bfb3b, v61, -v9
	v_fma_f32 v1, 0x3f5ff5aa, v1, -v14
	v_fma_f32 v4, 0xbeae86e6, v5, -v16
	v_fmamk_f32 v18, v45, 0x3d64c772, v10
	v_fma_f32 v12, 0x3f3bfb3b, v62, -v12
	v_fma_f32 v10, 0xbf3bfb3b, v62, -v10
	v_fmamk_f32 v5, v7, 0xbf955555, v21
	v_fmac_f32_e32 v23, 0x3ee1c552, v0
	v_fmac_f32_e32 v19, 0x3ee1c552, v3
	;; [unrolled: 1-line block ×4, first 2 shown]
	v_add_f32_e32 v0, v17, v2
	v_fmac_f32_e32 v1, 0x3ee1c552, v3
	v_fmac_f32_e32 v4, 0x3ee1c552, v3
	v_add_f32_e32 v3, v11, v2
	v_add_f32_e32 v2, v9, v2
	;; [unrolled: 1-line block ×7, first 2 shown]
	v_sub_f32_e32 v10, v3, v1
	v_add_f32_e32 v1, v1, v3
	v_sub_f32_e32 v2, v2, v4
	v_sub_f32_e32 v0, v0, v19
	v_add_f32_e32 v55, v6, v5
	v_sub_f32_e32 v57, v5, v6
	ds_write2_b32 v36, v8, v7 offset0:88 offset1:140
	ds_write2_b32 v38, v9, v10 offset0:64 offset1:116
	;; [unrolled: 1-line block ×3, first 2 shown]
	ds_write_b32 v29, v0 offset:4160
	s_waitcnt lgkmcnt(0)
	s_barrier
	buffer_gl0_inv
	ds_read2_b32 v[0:1], v87 offset1:52
	ds_read2_b32 v[6:7], v46 offset0:56 offset1:108
	ds_read2_b32 v[8:9], v50 offset0:88 offset1:140
	;; [unrolled: 1-line block ×9, first 2 shown]
	ds_read_b32 v20, v87 offset:4160
	v_sub_f32_e32 v52, v44, v23
	v_sub_f32_e32 v53, v45, v43
	v_add_f32_e32 v43, v43, v45
	v_add_f32_e32 v23, v23, v44
	s_waitcnt lgkmcnt(0)
	s_barrier
	buffer_gl0_inv
	ds_write2_b32 v87, v74, v54 offset1:52
	ds_write2_b32 v87, v56, v58 offset0:104 offset1:156
	ds_write2_b32 v48, v22, v31 offset0:80 offset1:132
	;; [unrolled: 1-line block ×9, first 2 shown]
	ds_write_b32 v29, v23 offset:4160
	s_waitcnt lgkmcnt(0)
	s_barrier
	buffer_gl0_inv
	s_and_saveexec_b32 s0, vcc_lo
	s_cbranch_execz .LBB0_37
; %bb.36:
	v_mov_b32_e32 v29, 0
	v_lshrrev_b32_e32 v77, 2, v86
	v_add_nc_u32_e32 v79, 52, v86
	v_mul_lo_u32 v76, s2, v27
	v_add_nc_u32_e32 v80, 0x68, v86
	v_mov_b32_e32 v38, v29
	v_lshlrev_b64 v[21:22], 3, v[28:29]
	v_mov_b32_e32 v36, v29
	v_mov_b32_e32 v31, v29
	v_add_nc_u32_e32 v81, 0x9c, v86
	v_lshlrev_b64 v[37:38], 3, v[37:38]
	v_mul_hi_u32 v78, 0x5a05a05b, v77
	v_add_co_u32 v21, vcc_lo, s12, v21
	v_add_co_ci_u32_e32 v22, vcc_lo, s13, v22, vcc_lo
	v_add_co_u32 v23, vcc_lo, s12, v37
	v_add_co_ci_u32_e32 v28, vcc_lo, s13, v38, vcc_lo
	v_add_co_u32 v21, vcc_lo, 0x800, v21
	v_lshlrev_b64 v[44:45], 3, v[35:36]
	v_add_co_ci_u32_e32 v22, vcc_lo, 0, v22, vcc_lo
	v_add_co_u32 v40, vcc_lo, 0x800, v23
	v_mov_b32_e32 v35, v29
	v_add_co_ci_u32_e32 v41, vcc_lo, 0, v28, vcc_lo
	v_add_co_u32 v23, vcc_lo, s12, v44
	s_clause 0x1
	global_load_dwordx4 v[36:39], v[21:22], off offset:848
	global_load_dwordx4 v[40:43], v[40:41], off offset:848
	v_add_co_ci_u32_e32 v28, vcc_lo, s13, v45, vcc_lo
	v_lshlrev_b64 v[21:22], 3, v[34:35]
	v_add_co_u32 v44, vcc_lo, 0x800, v23
	v_mov_b32_e32 v34, v29
	v_add_co_ci_u32_e32 v45, vcc_lo, 0, v28, vcc_lo
	v_add_co_u32 v23, vcc_lo, s12, v21
	v_add_co_ci_u32_e32 v28, vcc_lo, s13, v22, vcc_lo
	v_lshlrev_b64 v[21:22], 3, v[33:34]
	v_add_co_u32 v46, vcc_lo, 0x800, v23
	v_add_co_ci_u32_e32 v47, vcc_lo, 0, v28, vcc_lo
	v_mov_b32_e32 v33, v29
	v_add_co_u32 v21, vcc_lo, s12, v21
	v_add_co_ci_u32_e32 v22, vcc_lo, s13, v22, vcc_lo
	v_lshlrev_b64 v[52:53], 3, v[32:33]
	v_add_co_u32 v21, vcc_lo, 0x800, v21
	v_add_co_ci_u32_e32 v22, vcc_lo, 0, v22, vcc_lo
	s_clause 0x2
	global_load_dwordx4 v[32:35], v[44:45], off offset:848
	global_load_dwordx4 v[44:47], v[46:47], off offset:848
	global_load_dwordx4 v[48:51], v[21:22], off offset:848
	v_lshlrev_b64 v[21:22], 3, v[30:31]
	v_add_co_u32 v23, vcc_lo, s12, v52
	v_add_co_ci_u32_e32 v28, vcc_lo, s13, v53, vcc_lo
	v_lshrrev_b32_e32 v83, 2, v79
	v_add_co_u32 v30, vcc_lo, s12, v21
	v_add_co_ci_u32_e32 v31, vcc_lo, s13, v22, vcc_lo
	v_add_co_u32 v21, vcc_lo, 0x800, v23
	v_add_co_ci_u32_e32 v22, vcc_lo, 0, v28, vcc_lo
	;; [unrolled: 2-line block ×3, first 2 shown]
	s_clause 0x1
	global_load_dwordx4 v[52:55], v[21:22], off offset:848
	global_load_dwordx4 v[56:59], v[30:31], off offset:848
	v_mul_lo_u32 v28, s3, v26
	v_mad_u64_u32 v[21:22], null, s2, v26, 0
	v_lshrrev_b32_e32 v84, 2, v80
	v_add_nc_u32_e32 v68, 0x800, v87
	ds_read_b32 v85, v87 offset:4160
	v_add_nc_u32_e32 v72, 0x400, v87
	v_add_nc_u32_e32 v70, 0xc00, v87
	;; [unrolled: 1-line block ×3, first 2 shown]
	ds_read2_b32 v[26:27], v87 offset0:104 offset1:156
	v_add_nc_u32_e32 v74, 0xa00, v87
	ds_read2_b32 v[30:31], v87 offset1:52
	v_add_nc_u32_e32 v82, 0xd0, v86
	v_lshrrev_b32_e32 v87, 2, v81
	v_add3_u32 v22, v22, v76, v28
	v_mul_hi_u32 v28, 0x5a05a05b, v83
	v_mul_hi_u32 v76, 0x5a05a05b, v84
	v_lshrrev_b32_e32 v84, 5, v78
	v_lshrrev_b32_e32 v88, 2, v82
	v_mul_hi_u32 v83, 0x5a05a05b, v87
	v_lshlrev_b64 v[21:22], 3, v[21:22]
	v_lshlrev_b64 v[23:24], 3, v[24:25]
	v_mul_u32_u24_e32 v84, 0x16c, v84
	v_lshrrev_b32_e32 v28, 5, v28
	v_mul_hi_u32 v87, 0x5a05a05b, v88
	v_add_nc_u32_e32 v101, 0x104, v86
	v_add_co_u32 v21, vcc_lo, s10, v21
	v_lshrrev_b32_e32 v95, 5, v83
	v_sub_nc_u32_e32 v83, v86, v84
	v_mul_u32_u24_e32 v84, 0x16c, v28
	v_add_co_ci_u32_e32 v22, vcc_lo, s11, v22, vcc_lo
	v_lshrrev_b32_e32 v89, 2, v101
	v_lshrrev_b32_e32 v76, 5, v76
	;; [unrolled: 1-line block ×3, first 2 shown]
	v_add_co_u32 v103, vcc_lo, v21, v23
	v_sub_nc_u32_e32 v23, v79, v84
	v_mul_hi_u32 v102, 0x5a05a05b, v89
	v_mul_u32_u24_e32 v87, 0x16c, v76
	v_mul_u32_u24_e32 v88, 0x16c, v95
	v_mul_u32_u24_e32 v89, 0x16c, v99
	v_mad_u32_u24 v28, 0x444, v28, v23
	v_add_co_ci_u32_e32 v104, vcc_lo, v22, v24, vcc_lo
	v_sub_nc_u32_e32 v90, v80, v87
	v_sub_nc_u32_e32 v96, v81, v88
	;; [unrolled: 1-line block ×3, first 2 shown]
	v_lshlrev_b64 v[81:82], 3, v[28:29]
	v_add_nc_u32_e32 v24, 0x16c, v28
	v_add_nc_u32_e32 v28, 0x2d8, v28
	ds_read2_b32 v[60:61], v68 offset0:112 offset1:164
	ds_read2_b32 v[62:63], v72 offset0:56 offset1:108
	;; [unrolled: 1-line block ×8, first 2 shown]
	v_mov_b32_e32 v77, v29
	v_lshlrev_b32_e32 v21, 3, v83
	v_mov_b32_e32 v25, v29
	v_lshlrev_b64 v[87:88], 3, v[28:29]
	v_mad_u32_u24 v28, 0x444, v76, v90
	v_mov_b32_e32 v78, v29
	v_add_co_u32 v21, vcc_lo, v103, v21
	v_add_co_ci_u32_e32 v22, vcc_lo, 0, v104, vcc_lo
	v_lshlrev_b64 v[89:90], 3, v[28:29]
	v_add_nc_u32_e32 v76, 0x16c, v28
	v_add_nc_u32_e32 v28, 0x2d8, v28
	v_lshlrev_b64 v[23:24], 3, v[24:25]
	v_add_co_u32 v79, vcc_lo, 0x800, v21
	v_lshlrev_b64 v[91:92], 3, v[76:77]
	v_lshlrev_b64 v[93:94], 3, v[28:29]
	v_mad_u32_u24 v28, 0x444, v95, v96
	v_add_co_ci_u32_e32 v80, vcc_lo, 0, v22, vcc_lo
	v_add_co_u32 v83, vcc_lo, 0x1000, v21
	v_add_nc_u32_e32 v77, 0x16c, v28
	v_add_co_ci_u32_e32 v84, vcc_lo, 0, v22, vcc_lo
	v_add_co_u32 v81, vcc_lo, v103, v81
	v_lshlrev_b64 v[76:77], 3, v[77:78]
	v_add_co_ci_u32_e32 v82, vcc_lo, v104, v82, vcc_lo
	v_add_co_u32 v23, vcc_lo, v103, v23
	v_add_co_ci_u32_e32 v24, vcc_lo, v104, v24, vcc_lo
	v_add_co_u32 v87, vcc_lo, v103, v87
	;; [unrolled: 2-line block ×3, first 2 shown]
	v_add_co_ci_u32_e32 v90, vcc_lo, v104, v90, vcc_lo
	v_lshlrev_b64 v[95:96], 3, v[28:29]
	v_add_co_u32 v91, vcc_lo, v103, v91
	v_add_co_ci_u32_e32 v92, vcc_lo, v104, v92, vcc_lo
	v_add_co_u32 v93, vcc_lo, v103, v93
	v_add_co_ci_u32_e32 v94, vcc_lo, v104, v94, vcc_lo
	v_add_nc_u32_e32 v28, 0x2d8, v28
	v_add_co_u32 v95, vcc_lo, v103, v95
	v_add_co_ci_u32_e32 v96, vcc_lo, v104, v96, vcc_lo
	v_lshlrev_b64 v[97:98], 3, v[28:29]
	v_mad_u32_u24 v28, 0x444, v99, v100
	v_add_co_u32 v76, vcc_lo, v103, v76
	v_add_co_ci_u32_e32 v77, vcc_lo, v104, v77, vcc_lo
	v_lshlrev_b64 v[99:100], 3, v[28:29]
	s_waitcnt vmcnt(6) lgkmcnt(7)
	v_mul_f32_e32 v25, v37, v61
	v_mul_f32_e32 v78, v39, v85
	;; [unrolled: 1-line block ×4, first 2 shown]
	v_fma_f32 v25, v19, v36, -v25
	v_fma_f32 v36, v20, v38, -v78
	v_fmac_f32_e32 v61, v19, v37
	v_fmac_f32_e32 v85, v20, v39
	s_waitcnt vmcnt(5)
	v_mul_f32_e32 v19, v41, v60
	s_waitcnt lgkmcnt(5)
	v_mul_f32_e32 v20, v43, v65
	v_mul_f32_e32 v37, v40, v60
	;; [unrolled: 1-line block ×3, first 2 shown]
	v_sub_f32_e32 v111, v25, v36
	v_add_f32_e32 v113, v25, v36
	v_add_f32_e32 v25, v6, v25
	v_fma_f32 v19, v18, v40, -v19
	v_fma_f32 v20, v17, v42, -v20
	v_fmac_f32_e32 v37, v18, v41
	v_fmac_f32_e32 v38, v17, v43
	v_add_f32_e32 v112, v61, v85
	v_sub_f32_e32 v114, v61, v85
	v_add_f32_e32 v61, v61, v62
	v_sub_f32_e32 v41, v19, v20
	v_sub_f32_e32 v42, v37, v38
	v_fma_f32 v6, -0.5, v113, v6
	s_waitcnt vmcnt(4) lgkmcnt(3)
	v_mul_f32_e32 v39, v33, v69
	v_mul_f32_e32 v60, v35, v64
	;; [unrolled: 1-line block ×4, first 2 shown]
	s_waitcnt vmcnt(3)
	v_mul_f32_e32 v69, v45, v68
	s_waitcnt lgkmcnt(2)
	v_mul_f32_e32 v78, v47, v71
	v_mul_f32_e32 v68, v44, v68
	;; [unrolled: 1-line block ×3, first 2 shown]
	s_waitcnt vmcnt(2) lgkmcnt(1)
	v_mul_f32_e32 v105, v49, v73
	v_mul_f32_e32 v73, v48, v73
	;; [unrolled: 1-line block ×4, first 2 shown]
	v_fma_f32 v17, v15, v32, -v39
	v_fmac_f32_e32 v65, v15, v33
	v_fmac_f32_e32 v64, v16, v35
	v_fma_f32 v32, v13, v46, -v78
	v_fmac_f32_e32 v68, v14, v45
	v_fmac_f32_e32 v71, v13, v47
	v_fma_f32 v13, v11, v48, -v105
	v_fmac_f32_e32 v73, v11, v49
	v_fma_f32 v15, v14, v44, -v69
	v_fma_f32 v18, v16, v34, -v60
	s_waitcnt vmcnt(1)
	v_mul_f32_e32 v107, v53, v72
	s_waitcnt lgkmcnt(0)
	v_mul_f32_e32 v108, v55, v75
	v_mul_f32_e32 v72, v52, v72
	s_waitcnt vmcnt(0)
	v_mul_f32_e32 v109, v57, v63
	v_mul_f32_e32 v110, v59, v74
	v_mul_f32_e32 v63, v56, v63
	v_mul_f32_e32 v74, v58, v74
	v_mul_f32_e32 v75, v54, v75
	v_fma_f32 v11, v10, v52, -v107
	v_fma_f32 v39, v9, v54, -v108
	v_fmac_f32_e32 v72, v10, v53
	v_fma_f32 v10, v7, v56, -v109
	v_fma_f32 v40, v8, v58, -v110
	v_fmac_f32_e32 v63, v7, v57
	v_fmac_f32_e32 v74, v8, v59
	;; [unrolled: 1-line block ×3, first 2 shown]
	v_fma_f32 v34, v12, v50, -v106
	v_fmac_f32_e32 v70, v12, v51
	v_add_f32_e32 v8, v25, v36
	v_add_f32_e32 v12, v37, v38
	;; [unrolled: 1-line block ×5, first 2 shown]
	v_sub_f32_e32 v44, v65, v64
	v_add_f32_e32 v35, v65, v66
	v_add_f32_e32 v37, v68, v71
	v_sub_f32_e32 v47, v68, v71
	v_add_f32_e32 v48, v68, v27
	v_add_f32_e32 v55, v2, v13
	;; [unrolled: 1-line block ×12, first 2 shown]
	v_sub_f32_e32 v59, v72, v75
	v_add_f32_e32 v60, v72, v31
	v_sub_f32_e32 v69, v63, v74
	v_add_f32_e32 v63, v63, v30
	v_add_f32_e32 v72, v0, v10
	v_fma_f32 v7, -0.5, v112, v62
	v_add_f32_e32 v9, v85, v61
	v_add_f32_e32 v49, v3, v15
	v_sub_f32_e32 v50, v13, v34
	v_add_f32_e32 v61, v1, v11
	v_sub_f32_e32 v62, v10, v40
	v_fma_f32 v13, -0.5, v12, v67
	v_fma_f32 v12, -0.5, v14, v5
	v_fma_f32 v5, -0.5, v25, v66
	v_add_f32_e32 v25, v55, v34
	v_fma_f32 v34, -0.5, v58, v1
	v_fma_f32 v1, -0.5, v65, v30
	;; [unrolled: 1-line block ×3, first 2 shown]
	v_sub_f32_e32 v43, v17, v18
	v_sub_f32_e32 v45, v15, v32
	;; [unrolled: 1-line block ×3, first 2 shown]
	v_add_f32_e32 v15, v38, v16
	v_add_f32_e32 v17, v64, v35
	;; [unrolled: 1-line block ×3, first 2 shown]
	v_fma_f32 v18, -0.5, v46, v3
	v_fma_f32 v35, -0.5, v57, v31
	v_sub_f32_e32 v53, v73, v70
	v_add_f32_e32 v54, v73, v26
	v_add_f32_e32 v14, v19, v20
	v_fma_f32 v4, -0.5, v33, v4
	v_fma_f32 v19, -0.5, v37, v27
	;; [unrolled: 1-line block ×4, first 2 shown]
	v_add_f32_e32 v31, v74, v63
	v_add_f32_e32 v30, v72, v40
	;; [unrolled: 1-line block ×4, first 2 shown]
	v_fmamk_f32 v49, v62, 0x3f5db3d7, v1
	v_fmamk_f32 v48, v69, 0xbf5db3d7, v0
	v_fmac_f32_e32 v1, 0xbf5db3d7, v62
	v_fmac_f32_e32 v0, 0x3f5db3d7, v69
	v_add_f32_e32 v37, v75, v60
	v_add_f32_e32 v36, v61, v39
	v_fmamk_f32 v38, v42, 0xbf5db3d7, v12
	v_fmac_f32_e32 v12, 0x3f5db3d7, v42
	v_fmamk_f32 v42, v47, 0xbf5db3d7, v18
	v_fmac_f32_e32 v18, 0x3f5db3d7, v47
	v_fmamk_f32 v47, v56, 0x3f5db3d7, v35
	v_fmamk_f32 v46, v59, 0xbf5db3d7, v34
	v_fmac_f32_e32 v35, 0xbf5db3d7, v56
	v_fmac_f32_e32 v34, 0x3f5db3d7, v59
	v_add_f32_e32 v26, v70, v54
	v_fmamk_f32 v39, v41, 0x3f5db3d7, v13
	v_fmac_f32_e32 v13, 0xbf5db3d7, v41
	v_fmamk_f32 v41, v43, 0x3f5db3d7, v5
	v_fmamk_f32 v40, v44, 0xbf5db3d7, v4
	v_fmac_f32_e32 v5, 0xbf5db3d7, v43
	v_fmac_f32_e32 v4, 0x3f5db3d7, v44
	v_fmamk_f32 v43, v45, 0x3f5db3d7, v19
	v_fmac_f32_e32 v19, 0xbf5db3d7, v45
	v_fmamk_f32 v45, v50, 0x3f5db3d7, v3
	v_fmamk_f32 v44, v53, 0xbf5db3d7, v2
	v_fmac_f32_e32 v3, 0xbf5db3d7, v50
	v_fmac_f32_e32 v2, 0x3f5db3d7, v53
	global_store_dwordx2 v[21:22], v[30:31], off
	global_store_dwordx2 v[79:80], v[0:1], off offset:864
	global_store_dwordx2 v[83:84], v[48:49], off offset:1728
	global_store_dwordx2 v[81:82], v[36:37], off
	global_store_dwordx2 v[23:24], v[34:35], off
	;; [unrolled: 1-line block ×7, first 2 shown]
	v_lshrrev_b32_e32 v24, 5, v102
	v_add_nc_u32_e32 v25, 0x138, v86
	v_add_nc_u32_e32 v0, 0x16c, v28
	v_mov_b32_e32 v1, v29
	v_add_co_u32 v2, vcc_lo, v103, v97
	v_mul_u32_u24_e32 v22, 0x16c, v24
	v_add_co_ci_u32_e32 v3, vcc_lo, v104, v98, vcc_lo
	v_lshlrev_b64 v[0:1], 3, v[0:1]
	v_add_co_u32 v20, vcc_lo, v103, v99
	v_sub_nc_u32_e32 v26, v101, v22
	v_lshrrev_b32_e32 v22, 2, v25
	v_add_nc_u32_e32 v28, 0x2d8, v28
	v_add_co_ci_u32_e32 v21, vcc_lo, v104, v100, vcc_lo
	v_add_co_u32 v0, vcc_lo, v103, v0
	v_mul_hi_u32 v27, 0x5a05a05b, v22
	v_add_co_ci_u32_e32 v1, vcc_lo, v104, v1, vcc_lo
	v_lshlrev_b64 v[22:23], 3, v[28:29]
	v_mad_u32_u24 v28, 0x444, v24, v26
	global_store_dwordx2 v[76:77], v[18:19], off
	global_store_dwordx2 v[2:3], v[42:43], off
	;; [unrolled: 1-line block ×4, first 2 shown]
	v_mov_b32_e32 v5, v29
	v_fmamk_f32 v11, v111, 0x3f5db3d7, v7
	v_lshrrev_b32_e32 v16, 5, v27
	v_lshlrev_b64 v[0:1], 3, v[28:29]
	v_add_co_u32 v2, vcc_lo, v103, v22
	v_add_co_ci_u32_e32 v3, vcc_lo, v104, v23, vcc_lo
	v_mul_u32_u24_e32 v17, 0x16c, v16
	v_add_nc_u32_e32 v4, 0x16c, v28
	v_add_co_u32 v0, vcc_lo, v103, v0
	v_add_nc_u32_e32 v28, 0x2d8, v28
	v_sub_nc_u32_e32 v17, v25, v17
	v_add_co_ci_u32_e32 v1, vcc_lo, v104, v1, vcc_lo
	v_lshlrev_b64 v[4:5], 3, v[4:5]
	global_store_dwordx2 v[2:3], v[40:41], off
	global_store_dwordx2 v[0:1], v[14:15], off
	v_lshlrev_b64 v[0:1], 3, v[28:29]
	v_mad_u32_u24 v28, 0x444, v16, v17
	v_mov_b32_e32 v15, v29
	v_add_co_u32 v2, vcc_lo, v103, v4
	v_add_co_ci_u32_e32 v3, vcc_lo, v104, v5, vcc_lo
	v_add_nc_u32_e32 v14, 0x16c, v28
	v_lshlrev_b64 v[4:5], 3, v[28:29]
	v_add_nc_u32_e32 v28, 0x2d8, v28
	v_add_co_u32 v0, vcc_lo, v103, v0
	v_lshlrev_b64 v[14:15], 3, v[14:15]
	v_add_co_ci_u32_e32 v1, vcc_lo, v104, v1, vcc_lo
	v_add_co_u32 v4, vcc_lo, v103, v4
	v_lshlrev_b64 v[16:17], 3, v[28:29]
	v_add_co_ci_u32_e32 v5, vcc_lo, v104, v5, vcc_lo
	v_add_co_u32 v14, vcc_lo, v103, v14
	v_add_co_ci_u32_e32 v15, vcc_lo, v104, v15, vcc_lo
	v_add_co_u32 v16, vcc_lo, v103, v16
	v_fmamk_f32 v10, v114, 0xbf5db3d7, v6
	v_fmac_f32_e32 v7, 0xbf5db3d7, v111
	v_fmac_f32_e32 v6, 0x3f5db3d7, v114
	v_add_co_ci_u32_e32 v17, vcc_lo, v104, v17, vcc_lo
	global_store_dwordx2 v[2:3], v[12:13], off
	global_store_dwordx2 v[0:1], v[38:39], off
	;; [unrolled: 1-line block ×5, first 2 shown]
.LBB0_37:
	s_endpgm
	.section	.rodata,"a",@progbits
	.p2align	6, 0x0
	.amdhsa_kernel fft_rtc_fwd_len1092_factors_2_2_13_7_3_wgs_52_tpt_52_halfLds_sp_op_CI_CI_unitstride_sbrr_dirReg
		.amdhsa_group_segment_fixed_size 0
		.amdhsa_private_segment_fixed_size 0
		.amdhsa_kernarg_size 104
		.amdhsa_user_sgpr_count 6
		.amdhsa_user_sgpr_private_segment_buffer 1
		.amdhsa_user_sgpr_dispatch_ptr 0
		.amdhsa_user_sgpr_queue_ptr 0
		.amdhsa_user_sgpr_kernarg_segment_ptr 1
		.amdhsa_user_sgpr_dispatch_id 0
		.amdhsa_user_sgpr_flat_scratch_init 0
		.amdhsa_user_sgpr_private_segment_size 0
		.amdhsa_wavefront_size32 1
		.amdhsa_uses_dynamic_stack 0
		.amdhsa_system_sgpr_private_segment_wavefront_offset 0
		.amdhsa_system_sgpr_workgroup_id_x 1
		.amdhsa_system_sgpr_workgroup_id_y 0
		.amdhsa_system_sgpr_workgroup_id_z 0
		.amdhsa_system_sgpr_workgroup_info 0
		.amdhsa_system_vgpr_workitem_id 0
		.amdhsa_next_free_vgpr 143
		.amdhsa_next_free_sgpr 27
		.amdhsa_reserve_vcc 1
		.amdhsa_reserve_flat_scratch 0
		.amdhsa_float_round_mode_32 0
		.amdhsa_float_round_mode_16_64 0
		.amdhsa_float_denorm_mode_32 3
		.amdhsa_float_denorm_mode_16_64 3
		.amdhsa_dx10_clamp 1
		.amdhsa_ieee_mode 1
		.amdhsa_fp16_overflow 0
		.amdhsa_workgroup_processor_mode 1
		.amdhsa_memory_ordered 1
		.amdhsa_forward_progress 0
		.amdhsa_shared_vgpr_count 0
		.amdhsa_exception_fp_ieee_invalid_op 0
		.amdhsa_exception_fp_denorm_src 0
		.amdhsa_exception_fp_ieee_div_zero 0
		.amdhsa_exception_fp_ieee_overflow 0
		.amdhsa_exception_fp_ieee_underflow 0
		.amdhsa_exception_fp_ieee_inexact 0
		.amdhsa_exception_int_div_zero 0
	.end_amdhsa_kernel
	.text
.Lfunc_end0:
	.size	fft_rtc_fwd_len1092_factors_2_2_13_7_3_wgs_52_tpt_52_halfLds_sp_op_CI_CI_unitstride_sbrr_dirReg, .Lfunc_end0-fft_rtc_fwd_len1092_factors_2_2_13_7_3_wgs_52_tpt_52_halfLds_sp_op_CI_CI_unitstride_sbrr_dirReg
                                        ; -- End function
	.section	.AMDGPU.csdata,"",@progbits
; Kernel info:
; codeLenInByte = 15448
; NumSgprs: 29
; NumVgprs: 143
; ScratchSize: 0
; MemoryBound: 0
; FloatMode: 240
; IeeeMode: 1
; LDSByteSize: 0 bytes/workgroup (compile time only)
; SGPRBlocks: 3
; VGPRBlocks: 17
; NumSGPRsForWavesPerEU: 29
; NumVGPRsForWavesPerEU: 143
; Occupancy: 7
; WaveLimiterHint : 1
; COMPUTE_PGM_RSRC2:SCRATCH_EN: 0
; COMPUTE_PGM_RSRC2:USER_SGPR: 6
; COMPUTE_PGM_RSRC2:TRAP_HANDLER: 0
; COMPUTE_PGM_RSRC2:TGID_X_EN: 1
; COMPUTE_PGM_RSRC2:TGID_Y_EN: 0
; COMPUTE_PGM_RSRC2:TGID_Z_EN: 0
; COMPUTE_PGM_RSRC2:TIDIG_COMP_CNT: 0
	.text
	.p2alignl 6, 3214868480
	.fill 48, 4, 3214868480
	.type	__hip_cuid_4e812f49a7991274,@object ; @__hip_cuid_4e812f49a7991274
	.section	.bss,"aw",@nobits
	.globl	__hip_cuid_4e812f49a7991274
__hip_cuid_4e812f49a7991274:
	.byte	0                               ; 0x0
	.size	__hip_cuid_4e812f49a7991274, 1

	.ident	"AMD clang version 19.0.0git (https://github.com/RadeonOpenCompute/llvm-project roc-6.4.0 25133 c7fe45cf4b819c5991fe208aaa96edf142730f1d)"
	.section	".note.GNU-stack","",@progbits
	.addrsig
	.addrsig_sym __hip_cuid_4e812f49a7991274
	.amdgpu_metadata
---
amdhsa.kernels:
  - .args:
      - .actual_access:  read_only
        .address_space:  global
        .offset:         0
        .size:           8
        .value_kind:     global_buffer
      - .offset:         8
        .size:           8
        .value_kind:     by_value
      - .actual_access:  read_only
        .address_space:  global
        .offset:         16
        .size:           8
        .value_kind:     global_buffer
      - .actual_access:  read_only
        .address_space:  global
        .offset:         24
        .size:           8
        .value_kind:     global_buffer
      - .actual_access:  read_only
        .address_space:  global
        .offset:         32
        .size:           8
        .value_kind:     global_buffer
      - .offset:         40
        .size:           8
        .value_kind:     by_value
      - .actual_access:  read_only
        .address_space:  global
        .offset:         48
        .size:           8
        .value_kind:     global_buffer
      - .actual_access:  read_only
        .address_space:  global
        .offset:         56
        .size:           8
        .value_kind:     global_buffer
      - .offset:         64
        .size:           4
        .value_kind:     by_value
      - .actual_access:  read_only
        .address_space:  global
        .offset:         72
        .size:           8
        .value_kind:     global_buffer
      - .actual_access:  read_only
        .address_space:  global
        .offset:         80
        .size:           8
        .value_kind:     global_buffer
      - .actual_access:  read_only
        .address_space:  global
        .offset:         88
        .size:           8
        .value_kind:     global_buffer
      - .actual_access:  write_only
        .address_space:  global
        .offset:         96
        .size:           8
        .value_kind:     global_buffer
    .group_segment_fixed_size: 0
    .kernarg_segment_align: 8
    .kernarg_segment_size: 104
    .language:       OpenCL C
    .language_version:
      - 2
      - 0
    .max_flat_workgroup_size: 52
    .name:           fft_rtc_fwd_len1092_factors_2_2_13_7_3_wgs_52_tpt_52_halfLds_sp_op_CI_CI_unitstride_sbrr_dirReg
    .private_segment_fixed_size: 0
    .sgpr_count:     29
    .sgpr_spill_count: 0
    .symbol:         fft_rtc_fwd_len1092_factors_2_2_13_7_3_wgs_52_tpt_52_halfLds_sp_op_CI_CI_unitstride_sbrr_dirReg.kd
    .uniform_work_group_size: 1
    .uses_dynamic_stack: false
    .vgpr_count:     143
    .vgpr_spill_count: 0
    .wavefront_size: 32
    .workgroup_processor_mode: 1
amdhsa.target:   amdgcn-amd-amdhsa--gfx1030
amdhsa.version:
  - 1
  - 2
...

	.end_amdgpu_metadata
